;; amdgpu-corpus repo=ROCm/rocFFT kind=compiled arch=gfx1030 opt=O3
	.text
	.amdgcn_target "amdgcn-amd-amdhsa--gfx1030"
	.amdhsa_code_object_version 6
	.protected	fft_rtc_back_len195_factors_13_5_3_wgs_52_tpt_13_dp_ip_CI_sbrr_dirReg ; -- Begin function fft_rtc_back_len195_factors_13_5_3_wgs_52_tpt_13_dp_ip_CI_sbrr_dirReg
	.globl	fft_rtc_back_len195_factors_13_5_3_wgs_52_tpt_13_dp_ip_CI_sbrr_dirReg
	.p2align	8
	.type	fft_rtc_back_len195_factors_13_5_3_wgs_52_tpt_13_dp_ip_CI_sbrr_dirReg,@function
fft_rtc_back_len195_factors_13_5_3_wgs_52_tpt_13_dp_ip_CI_sbrr_dirReg: ; @fft_rtc_back_len195_factors_13_5_3_wgs_52_tpt_13_dp_ip_CI_sbrr_dirReg
; %bb.0:
	s_clause 0x2
	s_load_dwordx2 s[14:15], s[4:5], 0x18
	s_load_dwordx4 s[8:11], s[4:5], 0x0
	s_load_dwordx2 s[12:13], s[4:5], 0x50
	v_mul_u32_u24_e32 v1, 0x13b2, v0
	v_mov_b32_e32 v3, 0
	v_lshrrev_b32_e32 v9, 16, v1
	v_mov_b32_e32 v1, 0
	v_mov_b32_e32 v6, v3
	v_mov_b32_e32 v2, 0
	v_lshl_add_u32 v5, s6, 2, v9
	s_waitcnt lgkmcnt(0)
	s_load_dwordx2 s[2:3], s[14:15], 0x0
	v_cmp_lt_u64_e64 s0, s[10:11], 2
	s_and_b32 vcc_lo, exec_lo, s0
	s_cbranch_vccnz .LBB0_8
; %bb.1:
	s_load_dwordx2 s[0:1], s[4:5], 0x10
	v_mov_b32_e32 v1, 0
	s_add_u32 s6, s14, 8
	v_mov_b32_e32 v2, 0
	s_addc_u32 s7, s15, 0
	s_mov_b64 s[18:19], 1
	s_waitcnt lgkmcnt(0)
	s_add_u32 s16, s0, 8
	s_addc_u32 s17, s1, 0
.LBB0_2:                                ; =>This Inner Loop Header: Depth=1
	s_load_dwordx2 s[20:21], s[16:17], 0x0
                                        ; implicit-def: $vgpr7_vgpr8
	s_mov_b32 s0, exec_lo
	s_waitcnt lgkmcnt(0)
	v_or_b32_e32 v4, s21, v6
	v_cmpx_ne_u64_e32 0, v[3:4]
	s_xor_b32 s1, exec_lo, s0
	s_cbranch_execz .LBB0_4
; %bb.3:                                ;   in Loop: Header=BB0_2 Depth=1
	v_cvt_f32_u32_e32 v4, s20
	v_cvt_f32_u32_e32 v7, s21
	s_sub_u32 s0, 0, s20
	s_subb_u32 s22, 0, s21
	v_fmac_f32_e32 v4, 0x4f800000, v7
	v_rcp_f32_e32 v4, v4
	v_mul_f32_e32 v4, 0x5f7ffffc, v4
	v_mul_f32_e32 v7, 0x2f800000, v4
	v_trunc_f32_e32 v7, v7
	v_fmac_f32_e32 v4, 0xcf800000, v7
	v_cvt_u32_f32_e32 v7, v7
	v_cvt_u32_f32_e32 v4, v4
	v_mul_lo_u32 v8, s0, v7
	v_mul_hi_u32 v10, s0, v4
	v_mul_lo_u32 v11, s22, v4
	v_add_nc_u32_e32 v8, v10, v8
	v_mul_lo_u32 v10, s0, v4
	v_add_nc_u32_e32 v8, v8, v11
	v_mul_hi_u32 v11, v4, v10
	v_mul_lo_u32 v12, v4, v8
	v_mul_hi_u32 v13, v4, v8
	v_mul_hi_u32 v14, v7, v10
	v_mul_lo_u32 v10, v7, v10
	v_mul_hi_u32 v15, v7, v8
	v_mul_lo_u32 v8, v7, v8
	v_add_co_u32 v11, vcc_lo, v11, v12
	v_add_co_ci_u32_e32 v12, vcc_lo, 0, v13, vcc_lo
	v_add_co_u32 v10, vcc_lo, v11, v10
	v_add_co_ci_u32_e32 v10, vcc_lo, v12, v14, vcc_lo
	v_add_co_ci_u32_e32 v11, vcc_lo, 0, v15, vcc_lo
	v_add_co_u32 v8, vcc_lo, v10, v8
	v_add_co_ci_u32_e32 v10, vcc_lo, 0, v11, vcc_lo
	v_add_co_u32 v4, vcc_lo, v4, v8
	v_add_co_ci_u32_e32 v7, vcc_lo, v7, v10, vcc_lo
	v_mul_hi_u32 v8, s0, v4
	v_mul_lo_u32 v11, s22, v4
	v_mul_lo_u32 v10, s0, v7
	v_add_nc_u32_e32 v8, v8, v10
	v_mul_lo_u32 v10, s0, v4
	v_add_nc_u32_e32 v8, v8, v11
	v_mul_hi_u32 v11, v4, v10
	v_mul_lo_u32 v12, v4, v8
	v_mul_hi_u32 v13, v4, v8
	v_mul_hi_u32 v14, v7, v10
	v_mul_lo_u32 v10, v7, v10
	v_mul_hi_u32 v15, v7, v8
	v_mul_lo_u32 v8, v7, v8
	v_add_co_u32 v11, vcc_lo, v11, v12
	v_add_co_ci_u32_e32 v12, vcc_lo, 0, v13, vcc_lo
	v_add_co_u32 v10, vcc_lo, v11, v10
	v_add_co_ci_u32_e32 v10, vcc_lo, v12, v14, vcc_lo
	v_add_co_ci_u32_e32 v11, vcc_lo, 0, v15, vcc_lo
	v_add_co_u32 v8, vcc_lo, v10, v8
	v_add_co_ci_u32_e32 v10, vcc_lo, 0, v11, vcc_lo
	v_add_co_u32 v4, vcc_lo, v4, v8
	v_add_co_ci_u32_e32 v12, vcc_lo, v7, v10, vcc_lo
	v_mul_hi_u32 v14, v5, v4
	v_mad_u64_u32 v[10:11], null, v6, v4, 0
	v_mad_u64_u32 v[7:8], null, v5, v12, 0
	;; [unrolled: 1-line block ×3, first 2 shown]
	v_add_co_u32 v4, vcc_lo, v14, v7
	v_add_co_ci_u32_e32 v7, vcc_lo, 0, v8, vcc_lo
	v_add_co_u32 v4, vcc_lo, v4, v10
	v_add_co_ci_u32_e32 v4, vcc_lo, v7, v11, vcc_lo
	v_add_co_ci_u32_e32 v7, vcc_lo, 0, v13, vcc_lo
	v_add_co_u32 v4, vcc_lo, v4, v12
	v_add_co_ci_u32_e32 v10, vcc_lo, 0, v7, vcc_lo
	v_mul_lo_u32 v11, s21, v4
	v_mad_u64_u32 v[7:8], null, s20, v4, 0
	v_mul_lo_u32 v12, s20, v10
	v_sub_co_u32 v7, vcc_lo, v5, v7
	v_add3_u32 v8, v8, v12, v11
	v_sub_nc_u32_e32 v11, v6, v8
	v_subrev_co_ci_u32_e64 v11, s0, s21, v11, vcc_lo
	v_add_co_u32 v12, s0, v4, 2
	v_add_co_ci_u32_e64 v13, s0, 0, v10, s0
	v_sub_co_u32 v14, s0, v7, s20
	v_sub_co_ci_u32_e32 v8, vcc_lo, v6, v8, vcc_lo
	v_subrev_co_ci_u32_e64 v11, s0, 0, v11, s0
	v_cmp_le_u32_e32 vcc_lo, s20, v14
	v_cmp_eq_u32_e64 s0, s21, v8
	v_cndmask_b32_e64 v14, 0, -1, vcc_lo
	v_cmp_le_u32_e32 vcc_lo, s21, v11
	v_cndmask_b32_e64 v15, 0, -1, vcc_lo
	v_cmp_le_u32_e32 vcc_lo, s20, v7
	;; [unrolled: 2-line block ×3, first 2 shown]
	v_cndmask_b32_e64 v16, 0, -1, vcc_lo
	v_cmp_eq_u32_e32 vcc_lo, s21, v11
	v_cndmask_b32_e64 v7, v16, v7, s0
	v_cndmask_b32_e32 v11, v15, v14, vcc_lo
	v_add_co_u32 v14, vcc_lo, v4, 1
	v_add_co_ci_u32_e32 v15, vcc_lo, 0, v10, vcc_lo
	v_cmp_ne_u32_e32 vcc_lo, 0, v11
	v_cndmask_b32_e32 v8, v15, v13, vcc_lo
	v_cndmask_b32_e32 v11, v14, v12, vcc_lo
	v_cmp_ne_u32_e32 vcc_lo, 0, v7
	v_cndmask_b32_e32 v8, v10, v8, vcc_lo
	v_cndmask_b32_e32 v7, v4, v11, vcc_lo
.LBB0_4:                                ;   in Loop: Header=BB0_2 Depth=1
	s_andn2_saveexec_b32 s0, s1
	s_cbranch_execz .LBB0_6
; %bb.5:                                ;   in Loop: Header=BB0_2 Depth=1
	v_cvt_f32_u32_e32 v4, s20
	s_sub_i32 s1, 0, s20
	v_rcp_iflag_f32_e32 v4, v4
	v_mul_f32_e32 v4, 0x4f7ffffe, v4
	v_cvt_u32_f32_e32 v4, v4
	v_mul_lo_u32 v7, s1, v4
	v_mul_hi_u32 v7, v4, v7
	v_add_nc_u32_e32 v4, v4, v7
	v_mul_hi_u32 v4, v5, v4
	v_mul_lo_u32 v7, v4, s20
	v_add_nc_u32_e32 v8, 1, v4
	v_sub_nc_u32_e32 v7, v5, v7
	v_subrev_nc_u32_e32 v10, s20, v7
	v_cmp_le_u32_e32 vcc_lo, s20, v7
	v_cndmask_b32_e32 v7, v7, v10, vcc_lo
	v_cndmask_b32_e32 v4, v4, v8, vcc_lo
	v_cmp_le_u32_e32 vcc_lo, s20, v7
	v_add_nc_u32_e32 v8, 1, v4
	v_cndmask_b32_e32 v7, v4, v8, vcc_lo
	v_mov_b32_e32 v8, v3
.LBB0_6:                                ;   in Loop: Header=BB0_2 Depth=1
	s_or_b32 exec_lo, exec_lo, s0
	s_load_dwordx2 s[0:1], s[6:7], 0x0
	v_mul_lo_u32 v4, v8, s20
	v_mul_lo_u32 v12, v7, s21
	v_mad_u64_u32 v[10:11], null, v7, s20, 0
	s_add_u32 s18, s18, 1
	s_addc_u32 s19, s19, 0
	s_add_u32 s6, s6, 8
	s_addc_u32 s7, s7, 0
	s_add_u32 s16, s16, 8
	s_addc_u32 s17, s17, 0
	v_add3_u32 v4, v11, v12, v4
	v_sub_co_u32 v5, vcc_lo, v5, v10
	v_sub_co_ci_u32_e32 v4, vcc_lo, v6, v4, vcc_lo
	s_waitcnt lgkmcnt(0)
	v_mul_lo_u32 v6, s1, v5
	v_mul_lo_u32 v4, s0, v4
	v_mad_u64_u32 v[1:2], null, s0, v5, v[1:2]
	v_cmp_ge_u64_e64 s0, s[18:19], s[10:11]
	s_and_b32 vcc_lo, exec_lo, s0
	v_add3_u32 v2, v6, v2, v4
	s_cbranch_vccnz .LBB0_9
; %bb.7:                                ;   in Loop: Header=BB0_2 Depth=1
	v_mov_b32_e32 v5, v7
	v_mov_b32_e32 v6, v8
	s_branch .LBB0_2
.LBB0_8:
	v_mov_b32_e32 v8, v6
	v_mov_b32_e32 v7, v5
.LBB0_9:
	s_lshl_b64 s[0:1], s[10:11], 3
	v_mul_hi_u32 v3, 0x13b13b14, v0
	s_add_u32 s0, s14, s0
	s_addc_u32 s1, s15, s1
                                        ; implicit-def: $vgpr144
	s_load_dwordx2 s[0:1], s[0:1], 0x0
	s_load_dwordx2 s[4:5], s[4:5], 0x20
	v_mul_u32_u24_e32 v3, 13, v3
	v_sub_nc_u32_e32 v138, v0, v3
	v_and_b32_e32 v0, 3, v9
	v_add_nc_u32_e32 v139, 13, v138
	s_waitcnt lgkmcnt(0)
	v_mul_lo_u32 v4, s0, v8
	v_mul_lo_u32 v5, s1, v7
	v_mad_u64_u32 v[1:2], null, s0, v7, v[1:2]
	v_cmp_gt_u64_e32 vcc_lo, s[4:5], v[7:8]
	v_cmp_le_u64_e64 s0, s[4:5], v[7:8]
	v_add3_u32 v2, v5, v2, v4
	s_and_saveexec_b32 s1, s0
	s_xor_b32 s0, exec_lo, s1
; %bb.10:
	v_add_nc_u32_e32 v144, 13, v138
; %bb.11:
	s_or_saveexec_b32 s1, s0
	v_mul_u32_u24_e32 v3, 0xc3, v0
	v_lshlrev_b64 v[104:105], 4, v[1:2]
	v_lshlrev_b32_e32 v0, 4, v138
	v_add_nc_u32_e32 v140, 26, v138
	v_add_nc_u32_e32 v137, 39, v138
	v_lshlrev_b32_e32 v143, 4, v3
	v_add_nc_u32_e32 v135, 52, v138
	v_add_nc_u32_e32 v136, 0x41, v138
	;; [unrolled: 1-line block ×11, first 2 shown]
	s_xor_b32 exec_lo, exec_lo, s1
	s_cbranch_execz .LBB0_13
; %bb.12:
	v_mad_u64_u32 v[1:2], null, s2, v138, 0
	v_mad_u64_u32 v[3:4], null, s2, v139, 0
	;; [unrolled: 1-line block ×3, first 2 shown]
	v_add_co_u32 v28, s0, s12, v104
	v_add_co_ci_u32_e64 v39, s0, s13, v105, s0
	v_mad_u64_u32 v[7:8], null, s3, v138, v[2:3]
	v_mov_b32_e32 v2, v6
	v_mad_u64_u32 v[10:11], null, s3, v139, v[4:5]
	v_mad_u64_u32 v[8:9], null, s2, v137, 0
	;; [unrolled: 1-line block ×3, first 2 shown]
	v_mov_b32_e32 v2, v7
	v_mad_u64_u32 v[12:13], null, s2, v135, 0
	v_mov_b32_e32 v4, v10
	v_mov_b32_e32 v7, v9
	v_lshlrev_b64 v[1:2], 4, v[1:2]
	v_mov_b32_e32 v6, v11
	v_mad_u64_u32 v[16:17], null, s2, v134, 0
	v_lshlrev_b64 v[3:4], 4, v[3:4]
	v_mad_u64_u32 v[9:10], null, s3, v137, v[7:8]
	v_add_co_u32 v1, s0, v28, v1
	v_add_co_ci_u32_e64 v2, s0, v39, v2, s0
	v_mov_b32_e32 v7, v13
	v_mad_u64_u32 v[10:11], null, s2, v136, 0
	v_add_co_u32 v14, s0, v28, v3
	v_add_co_ci_u32_e64 v15, s0, v39, v4, s0
	v_lshlrev_b64 v[3:4], 4, v[5:6]
	v_mad_u64_u32 v[5:6], null, s3, v135, v[7:8]
	v_mov_b32_e32 v6, v11
	v_mad_u64_u32 v[31:32], null, s2, v127, 0
	v_add_co_u32 v18, s0, v28, v3
	v_add_co_ci_u32_e64 v19, s0, v39, v4, s0
	v_lshlrev_b64 v[3:4], 4, v[8:9]
	v_mov_b32_e32 v13, v5
	v_mad_u64_u32 v[5:6], null, s3, v136, v[6:7]
	v_mad_u64_u32 v[7:8], null, s2, v133, 0
	v_mov_b32_e32 v6, v17
	v_add_co_u32 v20, s0, v28, v3
	v_add_co_ci_u32_e64 v21, s0, v39, v4, s0
	v_lshlrev_b64 v[3:4], 4, v[12:13]
	v_mov_b32_e32 v11, v5
	v_mad_u64_u32 v[5:6], null, s3, v134, v[6:7]
	v_mov_b32_e32 v6, v8
	v_mad_u64_u32 v[12:13], null, s2, v132, 0
	v_add_co_u32 v22, s0, v28, v3
	v_add_co_ci_u32_e64 v23, s0, v39, v4, s0
	v_lshlrev_b64 v[3:4], 4, v[10:11]
	v_mov_b32_e32 v17, v5
	v_mad_u64_u32 v[5:6], null, s3, v133, v[6:7]
	v_mad_u64_u32 v[9:10], null, s2, v131, 0
	v_mov_b32_e32 v6, v13
	v_add_co_u32 v24, s0, v28, v3
	v_add_co_ci_u32_e64 v25, s0, v39, v4, s0
	v_lshlrev_b64 v[3:4], 4, v[16:17]
	v_mov_b32_e32 v8, v5
	v_mad_u64_u32 v[5:6], null, s3, v132, v[6:7]
	v_mov_b32_e32 v6, v10
	v_mad_u64_u32 v[16:17], null, s2, v130, 0
	v_add_co_u32 v26, s0, v28, v3
	v_add_co_ci_u32_e64 v27, s0, v39, v4, s0
	v_lshlrev_b64 v[3:4], 4, v[7:8]
	v_mad_u64_u32 v[6:7], null, s3, v131, v[6:7]
	v_mov_b32_e32 v13, v5
	v_mov_b32_e32 v5, v17
	v_mad_u64_u32 v[35:36], null, s2, v126, 0
	v_add_co_u32 v29, s0, v28, v3
	v_mov_b32_e32 v10, v6
	v_mad_u64_u32 v[5:6], null, s3, v130, v[5:6]
	v_add_co_ci_u32_e64 v30, s0, v39, v4, s0
	v_lshlrev_b64 v[3:4], 4, v[12:13]
	v_mad_u64_u32 v[11:12], null, s2, v129, 0
	v_mov_b32_e32 v13, v36
	v_mov_b32_e32 v17, v5
	v_add3_u32 v61, 0, v143, v0
	v_add_co_u32 v33, s0, v28, v3
	v_add_co_ci_u32_e64 v34, s0, v39, v4, s0
	v_lshlrev_b64 v[3:4], 4, v[9:10]
	v_lshlrev_b64 v[6:7], 4, v[16:17]
	v_mad_u64_u32 v[9:10], null, s2, v128, 0
	v_mov_b32_e32 v5, v12
	v_mov_b32_e32 v144, v139
	v_add_co_u32 v37, s0, v28, v3
	v_add_co_ci_u32_e64 v38, s0, v39, v4, s0
	v_mad_u64_u32 v[4:5], null, s3, v129, v[5:6]
	v_mov_b32_e32 v3, v10
	v_add_co_u32 v41, s0, v28, v6
	v_add_co_ci_u32_e64 v42, s0, v39, v7, s0
	v_mad_u64_u32 v[16:17], null, s3, v128, v[3:4]
	v_mov_b32_e32 v3, v32
	v_mov_b32_e32 v12, v4
	;; [unrolled: 1-line block ×3, first 2 shown]
	v_mad_u64_u32 v[16:17], null, s3, v127, v[3:4]
	s_clause 0x1
	global_load_dwordx4 v[1:4], v[1:2], off
	global_load_dwordx4 v[5:8], v[14:15], off
	v_mad_u64_u32 v[13:14], null, s3, v126, v[13:14]
	v_lshlrev_b64 v[11:12], 4, v[11:12]
	v_lshlrev_b64 v[9:10], 4, v[9:10]
	v_mov_b32_e32 v32, v16
	v_add_co_u32 v45, s0, v28, v11
	v_mov_b32_e32 v36, v13
	v_add_co_ci_u32_e64 v46, s0, v39, v12, s0
	v_lshlrev_b64 v[11:12], 4, v[31:32]
	v_add_co_u32 v49, s0, v28, v9
	v_lshlrev_b64 v[31:32], 4, v[35:36]
	v_add_co_ci_u32_e64 v50, s0, v39, v10, s0
	v_add_co_u32 v53, s0, v28, v11
	v_add_co_ci_u32_e64 v54, s0, v39, v12, s0
	v_add_co_u32 v57, s0, v28, v31
	v_add_co_ci_u32_e64 v58, s0, v39, v32, s0
	s_clause 0xc
	global_load_dwordx4 v[9:12], v[18:19], off
	global_load_dwordx4 v[13:16], v[20:21], off
	;; [unrolled: 1-line block ×13, first 2 shown]
	s_waitcnt vmcnt(14)
	ds_write_b128 v61, v[1:4]
	s_waitcnt vmcnt(13)
	ds_write_b128 v61, v[5:8] offset:208
	s_waitcnt vmcnt(12)
	ds_write_b128 v61, v[9:12] offset:416
	;; [unrolled: 2-line block ×14, first 2 shown]
.LBB0_13:
	s_or_b32 exec_lo, exec_lo, s1
	v_add_nc_u32_e32 v1, 0, v0
	v_add_nc_u32_e32 v145, 0, v143
	s_waitcnt lgkmcnt(0)
	s_barrier
	buffer_gl0_inv
	v_add_nc_u32_e32 v142, v1, v143
	v_add_nc_u32_e32 v141, v145, v0
	s_mov_b32 s38, 0x4267c47c
	s_mov_b32 s4, 0xe00740e9
	;; [unrolled: 1-line block ×3, first 2 shown]
	ds_read_b128 v[0:3], v142 offset:240
	ds_read_b128 v[20:23], v141
	ds_read_b128 v[8:11], v142 offset:480
	ds_read_b128 v[32:35], v142 offset:720
	ds_read_b128 v[28:31], v142 offset:960
	ds_read_b128 v[36:39], v142 offset:1200
	ds_read_b128 v[24:27], v142 offset:2880
	ds_read_b128 v[42:45], v142 offset:1440
	ds_read_b128 v[56:59], v142 offset:1680
	ds_read_b128 v[52:55], v142 offset:2640
	s_mov_b32 s5, 0x3fec55a7
	ds_read_b128 v[110:113], v142 offset:2400
	ds_read_b128 v[60:63], v142 offset:1920
	s_mov_b32 s36, 0x42a4c3d2
	s_mov_b32 s28, 0x1ea71119
	;; [unrolled: 1-line block ×9, first 2 shown]
	s_waitcnt lgkmcnt(10)
	v_add_f64 v[4:5], v[20:21], v[0:1]
	v_add_f64 v[6:7], v[22:23], v[2:3]
	s_mov_b32 s15, 0x3fbedb7d
	s_mov_b32 s41, 0x3fea55e2
	s_waitcnt lgkmcnt(5)
	v_add_f64 v[92:93], v[2:3], -v[26:27]
	v_add_f64 v[94:95], v[2:3], v[26:27]
	v_add_f64 v[114:115], v[0:1], v[24:25]
	s_waitcnt lgkmcnt(2)
	v_add_f64 v[64:65], v[10:11], v[54:55]
	v_add_f64 v[68:69], v[10:11], -v[54:55]
	v_add_f64 v[118:119], v[0:1], -v[24:25]
	s_waitcnt lgkmcnt(1)
	v_add_f64 v[74:75], v[34:35], v[112:113]
	v_add_f64 v[78:79], v[34:35], -v[112:113]
	v_add_f64 v[70:71], v[8:9], v[52:53]
	v_add_f64 v[66:67], v[8:9], -v[52:53]
	v_add_f64 v[40:41], v[42:43], v[56:57]
	v_add_f64 v[48:49], v[44:45], v[58:59]
	v_add_f64 v[50:51], v[44:45], -v[58:59]
	s_mov_b32 s40, s36
	v_add_f64 v[98:99], v[32:33], v[110:111]
	v_add_f64 v[96:97], v[32:33], -v[110:111]
	s_mov_b32 s26, 0x2ef20147
	s_mov_b32 s22, 0x24c2f84
	v_add_f64 v[4:5], v[4:5], v[8:9]
	v_add_f64 v[6:7], v[6:7], v[10:11]
	s_mov_b32 s16, 0x4bc48dbf
	s_mov_b32 s18, 0xb2365da1
	v_mul_f64 v[116:117], v[92:93], s[38:39]
	v_mul_f64 v[120:121], v[94:95], s[4:5]
	;; [unrolled: 1-line block ×5, first 2 shown]
	s_mov_b32 s10, 0xd0032e0c
	v_mul_f64 v[100:101], v[74:75], s[14:15]
	v_mul_f64 v[102:103], v[78:79], s[30:31]
	s_mov_b32 s6, 0x93053d00
	s_mov_b32 s27, 0xbfedeba7
	;; [unrolled: 1-line block ×9, first 2 shown]
	s_waitcnt lgkmcnt(0)
	v_add_f64 v[86:87], v[38:39], v[62:63]
	v_add_f64 v[4:5], v[4:5], v[32:33]
	;; [unrolled: 1-line block ×3, first 2 shown]
	v_add_f64 v[88:89], v[38:39], -v[62:63]
	v_mul_f64 v[122:123], v[92:93], s[26:27]
	v_fma_f64 v[34:35], v[114:115], s[4:5], v[116:117]
	v_fma_f64 v[90:91], v[118:119], s[20:21], v[120:121]
	v_mul_f64 v[124:125], v[92:93], s[22:23]
	v_mul_f64 v[146:147], v[92:93], s[16:17]
	;; [unrolled: 1-line block ×6, first 2 shown]
	v_fma_f64 v[158:159], v[98:99], s[14:15], v[102:103]
	v_mul_f64 v[160:161], v[64:65], s[18:19]
	v_fma_f64 v[178:179], v[118:119], s[40:41], v[148:149]
	s_mov_b32 s45, 0x3fedeba7
	s_mov_b32 s44, s26
	v_mul_f64 v[162:163], v[78:79], s[16:17]
	v_mul_f64 v[164:165], v[74:75], s[6:7]
	v_fma_f64 v[148:149], v[118:119], s[36:37], v[148:149]
	s_mov_b32 s35, 0x3fe5384d
	s_mov_b32 s43, 0x3fcea1e5
	v_add_f64 v[4:5], v[4:5], v[28:29]
	v_add_f64 v[6:7], v[6:7], v[30:31]
	s_mov_b32 s34, s22
	s_mov_b32 s42, s16
	v_add_f64 v[32:33], v[20:21], v[34:35]
	v_fma_f64 v[34:35], v[66:67], s[40:41], v[72:73]
	v_mul_f64 v[182:183], v[68:69], s[34:35]
	v_fma_f64 v[116:117], v[114:115], s[4:5], -v[116:117]
	v_fma_f64 v[188:189], v[114:115], s[6:7], v[146:147]
	v_fma_f64 v[194:195], v[118:119], s[44:45], v[152:153]
	v_mul_f64 v[170:171], v[88:89], s[24:25]
	v_mul_f64 v[180:181], v[74:75], s[18:19]
	v_fma_f64 v[120:121], v[118:119], s[38:39], v[120:121]
	v_fma_f64 v[192:193], v[66:67], s[44:45], v[160:161]
	v_add_f64 v[178:179], v[22:23], v[178:179]
	v_fma_f64 v[160:161], v[66:67], s[26:27], v[160:161]
	v_fma_f64 v[152:153], v[118:119], s[26:27], v[152:153]
	v_mul_f64 v[176:177], v[78:79], s[44:45]
	v_mul_f64 v[172:173], v[86:87], s[14:15]
	v_add_f64 v[148:149], v[22:23], v[148:149]
	s_mov_b32 s1, exec_lo
	v_add_f64 v[4:5], v[4:5], v[36:37]
	v_add_f64 v[6:7], v[6:7], v[38:39]
	v_mul_f64 v[38:39], v[92:93], s[30:31]
	v_add_f64 v[194:195], v[22:23], v[194:195]
	v_add_f64 v[178:179], v[192:193], v[178:179]
	v_fma_f64 v[192:193], v[96:97], s[42:43], v[164:165]
	v_fma_f64 v[164:165], v[96:97], s[16:17], v[164:165]
	v_add_f64 v[152:153], v[22:23], v[152:153]
	v_add_f64 v[148:149], v[160:161], v[148:149]
	v_add_f64 v[2:3], v[4:5], v[42:43]
	v_add_f64 v[4:5], v[6:7], v[44:45]
	v_add_f64 v[42:43], v[42:43], -v[56:57]
	v_add_f64 v[44:45], v[36:37], v[60:61]
	v_fma_f64 v[186:187], v[114:115], s[14:15], v[38:39]
	v_fma_f64 v[38:39], v[114:115], s[14:15], -v[38:39]
	v_add_f64 v[148:149], v[164:165], v[148:149]
	v_add_f64 v[46:47], v[2:3], v[56:57]
	;; [unrolled: 1-line block ×3, first 2 shown]
	ds_read_b128 v[0:3], v142 offset:208
	ds_read_b128 v[16:19], v142 offset:448
	;; [unrolled: 1-line block ×6, first 2 shown]
	v_add_f64 v[186:187], v[20:21], v[186:187]
	v_add_f64 v[38:39], v[20:21], v[38:39]
	s_waitcnt lgkmcnt(1)
	v_add_f64 v[106:107], v[30:31], v[84:85]
	v_add_f64 v[56:57], v[46:47], v[60:61]
	;; [unrolled: 1-line block ×3, first 2 shown]
	v_add_f64 v[46:47], v[36:37], -v[60:61]
	v_add_f64 v[80:81], v[28:29], v[82:83]
	v_add_f64 v[108:109], v[30:31], -v[84:85]
	v_fma_f64 v[30:31], v[70:71], s[28:29], v[76:77]
	v_add_f64 v[36:37], v[22:23], v[90:91]
	v_add_f64 v[90:91], v[28:29], -v[82:83]
	v_mul_f64 v[28:29], v[92:93], s[36:37]
	v_mul_f64 v[60:61], v[50:51], s[16:17]
	;; [unrolled: 1-line block ×4, first 2 shown]
	v_add_f64 v[56:57], v[56:57], v[82:83]
	v_add_f64 v[58:59], v[58:59], v[84:85]
	v_mul_f64 v[82:83], v[88:89], s[22:23]
	v_mul_f64 v[84:85], v[86:87], s[10:11]
	v_mul_f64 v[92:93], v[108:109], s[26:27]
	v_add_f64 v[30:31], v[30:31], v[32:33]
	v_fma_f64 v[32:33], v[96:97], s[24:25], v[100:101]
	v_add_f64 v[34:35], v[34:35], v[36:37]
	v_mul_f64 v[36:37], v[68:69], s[26:27]
	v_fma_f64 v[174:175], v[114:115], s[28:29], v[28:29]
	v_fma_f64 v[28:29], v[114:115], s[28:29], -v[28:29]
	v_mul_f64 v[166:167], v[108:109], s[34:35]
	v_fma_f64 v[196:197], v[40:41], s[6:7], v[60:61]
	v_fma_f64 v[198:199], v[42:43], s[42:43], v[62:63]
	v_mul_f64 v[164:165], v[106:107], s[14:15]
	v_mul_f64 v[168:169], v[106:107], s[10:11]
	v_add_f64 v[56:57], v[56:57], v[110:111]
	v_add_f64 v[58:59], v[58:59], v[112:113]
	v_mul_f64 v[110:111], v[68:69], s[16:17]
	v_mul_f64 v[112:113], v[64:65], s[6:7]
	v_fma_f64 v[184:185], v[80:81], s[18:19], v[92:93]
	v_add_f64 v[30:31], v[158:159], v[30:31]
	v_fma_f64 v[158:159], v[90:91], s[44:45], v[94:95]
	v_add_f64 v[32:33], v[32:33], v[34:35]
	;; [unrolled: 2-line block ×3, first 2 shown]
	v_mul_f64 v[34:35], v[64:65], s[10:11]
	v_fma_f64 v[36:37], v[70:71], s[18:19], -v[36:37]
	v_add_f64 v[28:29], v[20:21], v[28:29]
	v_add_f64 v[52:53], v[56:57], v[52:53]
	;; [unrolled: 1-line block ×3, first 2 shown]
	v_fma_f64 v[56:57], v[114:115], s[18:19], v[122:123]
	v_fma_f64 v[58:59], v[114:115], s[18:19], -v[122:123]
	v_fma_f64 v[122:123], v[114:115], s[10:11], v[124:125]
	v_fma_f64 v[124:125], v[114:115], s[10:11], -v[124:125]
	v_fma_f64 v[114:115], v[114:115], s[6:7], -v[146:147]
	v_fma_f64 v[146:147], v[44:45], s[10:11], v[82:83]
	v_add_f64 v[30:31], v[184:185], v[30:31]
	v_fma_f64 v[184:185], v[46:47], s[34:35], v[84:85]
	v_add_f64 v[32:33], v[158:159], v[32:33]
	v_fma_f64 v[158:159], v[118:119], s[24:25], v[150:151]
	v_fma_f64 v[150:151], v[118:119], s[30:31], v[150:151]
	v_add_f64 v[174:175], v[190:191], v[174:175]
	v_fma_f64 v[190:191], v[98:99], s[6:7], v[162:163]
	;; [unrolled: 3-line block ×3, first 2 shown]
	v_fma_f64 v[160:161], v[66:67], s[22:23], v[34:35]
	v_fma_f64 v[162:163], v[98:99], s[6:7], -v[162:163]
	v_fma_f64 v[200:201], v[70:71], s[6:7], -v[110:111]
	;; [unrolled: 1-line block ×3, first 2 shown]
	v_add_f64 v[52:53], v[52:53], v[24:25]
	v_add_f64 v[54:55], v[54:55], v[26:27]
	v_fma_f64 v[24:25], v[118:119], s[34:35], v[154:155]
	v_fma_f64 v[26:27], v[118:119], s[22:23], v[154:155]
	;; [unrolled: 1-line block ×4, first 2 shown]
	v_add_f64 v[204:205], v[20:21], v[56:57]
	v_add_f64 v[208:209], v[20:21], v[122:123]
	;; [unrolled: 1-line block ×3, first 2 shown]
	v_fma_f64 v[146:147], v[70:71], s[6:7], v[110:111]
	v_add_f64 v[32:33], v[184:185], v[32:33]
	v_fma_f64 v[184:185], v[66:67], s[42:43], v[112:113]
	v_add_f64 v[158:159], v[22:23], v[158:159]
	v_add_f64 v[150:151], v[22:23], v[150:151]
	;; [unrolled: 1-line block ×3, first 2 shown]
	v_fma_f64 v[34:35], v[66:67], s[34:35], v[34:35]
	v_add_f64 v[110:111], v[22:23], v[120:121]
	v_add_f64 v[120:121], v[20:21], v[188:189]
	;; [unrolled: 1-line block ×5, first 2 shown]
	v_mul_f64 v[188:189], v[108:109], s[30:31]
	v_add_f64 v[112:113], v[20:21], v[116:117]
	v_add_f64 v[116:117], v[20:21], v[114:115]
	;; [unrolled: 1-line block ×5, first 2 shown]
	v_mul_f64 v[24:25], v[78:79], s[20:21]
	v_fma_f64 v[26:27], v[80:81], s[10:11], v[166:167]
	v_add_f64 v[154:155], v[190:191], v[174:175]
	v_add_f64 v[174:175], v[192:193], v[178:179]
	v_mul_f64 v[178:179], v[74:75], s[4:5]
	v_add_f64 v[56:57], v[196:197], v[30:31]
	v_add_f64 v[30:31], v[146:147], v[186:187]
	;; [unrolled: 1-line block ×3, first 2 shown]
	v_fma_f64 v[184:185], v[96:97], s[26:27], v[180:181]
	v_add_f64 v[150:151], v[202:203], v[150:151]
	v_mul_f64 v[186:187], v[106:107], s[4:5]
	v_fma_f64 v[180:181], v[96:97], s[44:45], v[180:181]
	v_add_f64 v[36:37], v[36:37], v[204:205]
	v_add_f64 v[58:59], v[198:199], v[32:33]
	v_fma_f64 v[32:33], v[98:99], s[18:19], v[176:177]
	v_mul_f64 v[158:159], v[108:109], s[20:21]
	v_fma_f64 v[176:177], v[98:99], s[18:19], -v[176:177]
	v_add_f64 v[182:183], v[182:183], v[206:207]
	v_add_f64 v[34:35], v[34:35], v[152:153]
	;; [unrolled: 1-line block ×3, first 2 shown]
	v_fma_f64 v[156:157], v[90:91], s[22:23], v[168:169]
	v_fma_f64 v[168:169], v[90:91], s[34:35], v[168:169]
	;; [unrolled: 1-line block ×3, first 2 shown]
	v_fma_f64 v[192:193], v[98:99], s[4:5], -v[24:25]
	v_add_f64 v[26:27], v[26:27], v[154:155]
	v_fma_f64 v[154:155], v[44:45], s[14:15], v[170:171]
	v_fma_f64 v[162:163], v[96:97], s[38:39], v[178:179]
	;; [unrolled: 1-line block ×3, first 2 shown]
	v_mul_f64 v[178:179], v[86:87], s[6:7]
	v_add_f64 v[124:125], v[20:21], v[124:125]
	ds_read_b128 v[20:23], v142 offset:1408
	v_add_f64 v[146:147], v[184:185], v[146:147]
	v_mul_f64 v[184:185], v[64:65], s[14:15]
	v_add_f64 v[150:151], v[180:181], v[150:151]
	v_mul_f64 v[180:181], v[86:87], s[28:29]
	v_mul_f64 v[64:65], v[64:65], s[4:5]
	v_add_f64 v[30:31], v[32:33], v[30:31]
	v_mul_f64 v[32:33], v[68:69], s[24:25]
	v_add_f64 v[38:39], v[176:177], v[38:39]
	v_fma_f64 v[176:177], v[80:81], s[4:5], v[158:159]
	v_mul_f64 v[68:69], v[68:69], s[20:21]
	v_mul_f64 v[194:195], v[78:79], s[36:37]
	v_add_f64 v[156:157], v[156:157], v[174:175]
	v_fma_f64 v[174:175], v[46:47], s[30:31], v[172:173]
	v_add_f64 v[36:37], v[190:191], v[36:37]
	v_fma_f64 v[190:191], v[90:91], s[24:25], v[164:165]
	v_add_f64 v[182:183], v[192:193], v[182:183]
	v_add_f64 v[154:155], v[154:155], v[26:27]
	v_fma_f64 v[26:27], v[90:91], s[38:39], v[186:187]
	v_fma_f64 v[186:187], v[90:91], s[20:21], v[186:187]
	v_add_f64 v[160:161], v[162:163], v[160:161]
	v_fma_f64 v[162:163], v[80:81], s[14:15], v[188:189]
	v_add_f64 v[34:35], v[152:153], v[34:35]
	v_fma_f64 v[152:153], v[46:47], s[16:17], v[178:179]
	v_fma_f64 v[188:189], v[80:81], s[14:15], -v[188:189]
	v_add_f64 v[148:149], v[168:169], v[148:149]
	v_fma_f64 v[168:169], v[44:45], s[14:15], -v[170:171]
	v_mul_f64 v[196:197], v[74:75], s[28:29]
	v_mul_f64 v[78:79], v[78:79], s[22:23]
	v_fma_f64 v[170:171], v[70:71], s[14:15], v[32:33]
	v_fma_f64 v[202:203], v[70:71], s[14:15], -v[32:33]
	v_add_f64 v[30:31], v[176:177], v[30:31]
	v_fma_f64 v[176:177], v[66:67], s[30:31], v[184:185]
	v_mul_f64 v[74:75], v[74:75], s[10:11]
	v_fma_f64 v[166:167], v[80:81], s[10:11], -v[166:167]
	v_add_f64 v[156:157], v[174:175], v[156:157]
	v_mul_f64 v[174:175], v[88:89], s[36:37]
	v_fma_f64 v[158:159], v[80:81], s[4:5], -v[158:159]
	v_fma_f64 v[192:193], v[98:99], s[28:29], v[194:195]
	v_fma_f64 v[194:195], v[98:99], s[28:29], -v[194:195]
	v_add_f64 v[146:147], v[26:27], v[146:147]
	v_add_f64 v[150:151], v[186:187], v[150:151]
	v_fma_f64 v[186:187], v[46:47], s[40:41], v[180:181]
	v_add_f64 v[160:161], v[190:191], v[160:161]
	v_fma_f64 v[180:181], v[46:47], s[36:37], v[180:181]
	v_fma_f64 v[172:173], v[46:47], s[24:25], v[172:173]
	v_add_f64 v[182:183], v[188:189], v[182:183]
	v_fma_f64 v[188:189], v[66:67], s[38:39], v[64:65]
	v_fma_f64 v[64:65], v[66:67], s[20:21], v[64:65]
	;; [unrolled: 1-line block ×4, first 2 shown]
	v_add_f64 v[170:171], v[170:171], v[208:209]
	v_add_f64 v[124:125], v[202:203], v[124:125]
	v_fma_f64 v[164:165], v[90:91], s[30:31], v[164:165]
	v_add_f64 v[176:177], v[176:177], v[210:211]
	v_add_f64 v[162:163], v[162:163], v[36:37]
	;; [unrolled: 1-line block ×3, first 2 shown]
	v_mul_f64 v[166:167], v[88:89], s[42:43]
	v_fma_f64 v[198:199], v[44:45], s[28:29], v[174:175]
	v_add_f64 v[158:159], v[158:159], v[38:39]
	v_fma_f64 v[174:175], v[44:45], s[28:29], -v[174:175]
	v_fma_f64 v[178:179], v[46:47], s[42:43], v[178:179]
	ds_read_b128 v[24:27], v142 offset:1648
	ds_read_b128 v[36:39], v142 offset:1888
	v_add_f64 v[146:147], v[186:187], v[146:147]
	v_add_f64 v[152:153], v[152:153], v[160:161]
	v_add_f64 v[150:151], v[180:181], v[150:151]
	v_fma_f64 v[180:181], v[66:67], s[24:25], v[184:185]
	v_fma_f64 v[160:161], v[70:71], s[4:5], v[68:69]
	v_fma_f64 v[68:69], v[70:71], s[4:5], -v[68:69]
	v_fma_f64 v[70:71], v[70:71], s[28:29], -v[76:77]
	v_fma_f64 v[66:67], v[66:67], s[36:37], v[72:73]
	v_mul_f64 v[72:73], v[108:109], s[42:43]
	v_add_f64 v[118:119], v[188:189], v[118:119]
	v_add_f64 v[64:65], v[64:65], v[114:115]
	v_fma_f64 v[114:115], v[96:97], s[34:35], v[74:75]
	v_mul_f64 v[108:109], v[108:109], s[40:41]
	v_fma_f64 v[74:75], v[96:97], s[22:23], v[74:75]
	v_fma_f64 v[96:97], v[96:97], s[30:31], v[100:101]
	v_add_f64 v[170:171], v[192:193], v[170:171]
	v_add_f64 v[176:177], v[200:201], v[176:177]
	;; [unrolled: 1-line block ×3, first 2 shown]
	v_mul_f64 v[194:195], v[88:89], s[20:21]
	v_mul_f64 v[88:89], v[88:89], s[26:27]
	v_fma_f64 v[190:191], v[44:45], s[6:7], v[166:167]
	v_add_f64 v[148:149], v[172:173], v[148:149]
	v_add_f64 v[172:173], v[198:199], v[30:31]
	v_mul_f64 v[198:199], v[50:51], s[20:21]
	v_mul_f64 v[186:187], v[48:49], s[4:5]
	v_add_f64 v[122:123], v[180:181], v[122:123]
	v_mul_f64 v[180:181], v[106:107], s[6:7]
	v_add_f64 v[120:121], v[160:161], v[120:121]
	v_add_f64 v[68:69], v[68:69], v[116:117]
	v_fma_f64 v[116:117], v[98:99], s[10:11], v[78:79]
	v_mul_f64 v[106:107], v[106:107], s[28:29]
	v_add_f64 v[70:71], v[70:71], v[112:113]
	v_fma_f64 v[78:79], v[98:99], s[10:11], -v[78:79]
	v_add_f64 v[66:67], v[66:67], v[110:111]
	v_fma_f64 v[98:99], v[98:99], s[14:15], -v[102:103]
	v_fma_f64 v[110:111], v[80:81], s[6:7], v[72:73]
	v_fma_f64 v[72:73], v[80:81], s[6:7], -v[72:73]
	v_add_f64 v[114:115], v[114:115], v[118:119]
	v_fma_f64 v[118:119], v[80:81], s[28:29], v[108:109]
	v_add_f64 v[64:65], v[74:75], v[64:65]
	v_fma_f64 v[74:75], v[80:81], s[28:29], -v[108:109]
	v_fma_f64 v[80:81], v[80:81], s[18:19], -v[92:93]
	v_add_f64 v[158:159], v[174:175], v[158:159]
	v_mul_f64 v[174:175], v[50:51], s[22:23]
	v_mul_f64 v[184:185], v[48:49], s[10:11]
	;; [unrolled: 1-line block ×4, first 2 shown]
	v_add_f64 v[122:123], v[196:197], v[122:123]
	v_fma_f64 v[102:103], v[90:91], s[16:17], v[180:181]
	v_mul_f64 v[196:197], v[86:87], s[4:5]
	v_fma_f64 v[180:181], v[90:91], s[42:43], v[180:181]
	v_add_f64 v[116:117], v[116:117], v[120:121]
	v_fma_f64 v[120:121], v[90:91], s[36:37], v[106:107]
	v_mul_f64 v[86:87], v[86:87], s[18:19]
	v_add_f64 v[68:69], v[78:79], v[68:69]
	v_fma_f64 v[78:79], v[90:91], s[40:41], v[106:107]
	v_add_f64 v[70:71], v[98:99], v[70:71]
	v_add_f64 v[66:67], v[96:97], v[66:67]
	v_fma_f64 v[90:91], v[90:91], s[26:27], v[94:95]
	v_fma_f64 v[166:167], v[44:45], s[6:7], -v[166:167]
	v_add_f64 v[106:107], v[110:111], v[170:171]
	v_fma_f64 v[92:93], v[44:45], s[4:5], v[194:195]
	v_mul_f64 v[96:97], v[50:51], s[26:27]
	v_mul_f64 v[98:99], v[48:49], s[18:19]
	v_add_f64 v[72:73], v[72:73], v[124:125]
	v_fma_f64 v[110:111], v[44:45], s[4:5], -v[194:195]
	v_mul_f64 v[50:51], v[50:51], s[24:25]
	v_mul_f64 v[48:49], v[48:49], s[14:15]
	v_add_f64 v[164:165], v[164:165], v[34:35]
	v_add_f64 v[162:163], v[190:191], v[162:163]
	;; [unrolled: 1-line block ×3, first 2 shown]
	v_fma_f64 v[94:95], v[46:47], s[38:39], v[196:197]
	v_add_f64 v[108:109], v[180:181], v[122:123]
	v_fma_f64 v[122:123], v[46:47], s[20:21], v[196:197]
	v_add_f64 v[116:117], v[118:119], v[116:117]
	v_add_f64 v[114:115], v[120:121], v[114:115]
	v_fma_f64 v[118:119], v[44:45], s[18:19], v[88:89]
	v_fma_f64 v[120:121], v[46:47], s[44:45], v[86:87]
	v_add_f64 v[68:69], v[74:75], v[68:69]
	v_add_f64 v[64:65], v[78:79], v[64:65]
	v_fma_f64 v[74:75], v[44:45], s[18:19], -v[88:89]
	v_fma_f64 v[78:79], v[46:47], s[26:27], v[86:87]
	v_add_f64 v[70:71], v[80:81], v[70:71]
	v_add_f64 v[66:67], v[90:91], v[66:67]
	v_fma_f64 v[44:45], v[44:45], s[10:11], -v[82:83]
	v_fma_f64 v[46:47], v[46:47], s[22:23], v[84:85]
	v_fma_f64 v[190:191], v[40:41], s[4:5], v[198:199]
	v_fma_f64 v[76:77], v[42:43], s[38:39], v[186:187]
	v_fma_f64 v[192:193], v[40:41], s[4:5], -v[198:199]
	v_fma_f64 v[186:187], v[42:43], s[20:21], v[186:187]
	v_fma_f64 v[160:161], v[40:41], s[10:11], v[174:175]
	v_fma_f64 v[188:189], v[42:43], s[34:35], v[184:185]
	v_fma_f64 v[174:175], v[40:41], s[10:11], -v[174:175]
	v_fma_f64 v[184:185], v[42:43], s[22:23], v[184:185]
	v_fma_f64 v[86:87], v[40:41], s[28:29], v[112:113]
	v_fma_f64 v[88:89], v[42:43], s[36:37], v[100:101]
	v_fma_f64 v[112:113], v[40:41], s[28:29], -v[112:113]
	v_add_f64 v[80:81], v[92:93], v[106:107]
	v_add_f64 v[82:83], v[94:95], v[102:103]
	v_fma_f64 v[84:85], v[40:41], s[18:19], v[96:97]
	v_fma_f64 v[90:91], v[42:43], s[44:45], v[98:99]
	v_add_f64 v[72:73], v[110:111], v[72:73]
	v_add_f64 v[106:107], v[122:123], v[108:109]
	v_fma_f64 v[108:109], v[40:41], s[18:19], -v[96:97]
	v_add_f64 v[110:111], v[118:119], v[116:117]
	v_add_f64 v[114:115], v[120:121], v[114:115]
	v_fma_f64 v[116:117], v[40:41], s[14:15], v[50:51]
	v_fma_f64 v[118:119], v[42:43], s[30:31], v[48:49]
	v_add_f64 v[68:69], v[74:75], v[68:69]
	v_add_f64 v[74:75], v[78:79], v[64:65]
	v_fma_f64 v[50:51], v[40:41], s[14:15], -v[50:51]
	v_fma_f64 v[48:49], v[42:43], s[24:25], v[48:49]
	v_fma_f64 v[78:79], v[42:43], s[26:27], v[98:99]
	;; [unrolled: 1-line block ×3, first 2 shown]
	v_add_f64 v[44:45], v[44:45], v[70:71]
	v_add_f64 v[46:47], v[46:47], v[66:67]
	v_fma_f64 v[40:41], v[40:41], s[6:7], -v[60:61]
	v_fma_f64 v[42:43], v[42:43], s[16:17], v[62:63]
	v_add_f64 v[124:125], v[166:167], v[182:183]
	v_add_f64 v[164:165], v[178:179], v[164:165]
	;; [unrolled: 1-line block ×3, first 2 shown]
	ds_read_b128 v[28:31], v142 offset:2128
	ds_read_b128 v[32:35], v142 offset:2368
	v_add_f64 v[94:95], v[88:89], v[152:153]
	v_add_f64 v[88:89], v[84:85], v[80:81]
	;; [unrolled: 1-line block ×17, first 2 shown]
	ds_read_b128 v[48:51], v142 offset:2608
	ds_read_b128 v[44:47], v142 offset:2848
	;; [unrolled: 1-line block ×3, first 2 shown]
	v_add_f64 v[72:73], v[112:113], v[124:125]
	v_add_f64 v[74:75], v[120:121], v[164:165]
	;; [unrolled: 1-line block ×5, first 2 shown]
	v_mad_u32_u24 v106, 0xd0, v138, v145
	s_waitcnt lgkmcnt(0)
	s_barrier
	buffer_gl0_inv
	ds_write_b128 v106, v[52:55]
	ds_write_b128 v106, v[56:59] offset:16
	ds_write_b128 v106, v[100:103] offset:32
	ds_write_b128 v106, v[96:99] offset:48
	ds_write_b128 v106, v[92:95] offset:64
	ds_write_b128 v106, v[88:91] offset:80
	ds_write_b128 v106, v[84:87] offset:96
	ds_write_b128 v106, v[80:83] offset:112
	ds_write_b128 v106, v[76:79] offset:128
	ds_write_b128 v106, v[72:75] offset:144
	ds_write_b128 v106, v[64:67] offset:160
	ds_write_b128 v106, v[60:63] offset:176
	ds_write_b128 v106, v[68:71] offset:192
	v_cmpx_gt_u32_e32 2, v138
	s_cbranch_execz .LBB0_15
; %bb.14:
	v_add_f64 v[84:85], v[16:17], -v[40:41]
	v_add_f64 v[98:99], v[18:19], -v[42:43]
	v_add_f64 v[94:95], v[12:13], -v[44:45]
	v_add_f64 v[96:97], v[14:15], -v[46:47]
	v_add_f64 v[92:93], v[18:19], v[42:43]
	v_add_f64 v[90:91], v[16:17], v[40:41]
	v_add_f64 v[82:83], v[4:5], -v[48:49]
	v_add_f64 v[88:89], v[6:7], -v[50:51]
	v_add_f64 v[80:81], v[14:15], v[46:47]
	v_add_f64 v[86:87], v[12:13], v[44:45]
	v_add_f64 v[74:75], v[8:9], -v[32:33]
	v_add_f64 v[72:73], v[6:7], v[50:51]
	v_add_f64 v[78:79], v[10:11], -v[34:35]
	;; [unrolled: 2-line block ×4, first 2 shown]
	v_add_f64 v[68:69], v[8:9], v[32:33]
	v_add_f64 v[18:19], v[2:3], v[18:19]
	;; [unrolled: 1-line block ×3, first 2 shown]
	v_add_f64 v[58:59], v[24:25], -v[36:37]
	v_add_f64 v[56:57], v[22:23], v[30:31]
	v_mul_f64 v[100:101], v[84:85], s[16:17]
	v_mul_f64 v[102:103], v[98:99], s[16:17]
	;; [unrolled: 1-line block ×15, first 2 shown]
	v_add_f64 v[62:63], v[26:27], -v[38:39]
	v_add_f64 v[60:61], v[20:21], v[28:29]
	v_mul_f64 v[108:109], v[66:67], s[26:27]
	v_mul_f64 v[118:119], v[70:71], s[26:27]
	;; [unrolled: 1-line block ×5, first 2 shown]
	v_fma_f64 v[151:152], v[92:93], s[6:7], v[100:101]
	v_fma_f64 v[153:154], v[90:91], s[6:7], -v[102:103]
	v_fma_f64 v[100:101], v[92:93], s[6:7], -v[100:101]
	v_fma_f64 v[102:103], v[90:91], s[6:7], v[102:103]
	v_fma_f64 v[177:178], v[80:81], s[4:5], v[114:115]
	v_fma_f64 v[179:180], v[86:87], s[4:5], -v[120:121]
	v_fma_f64 v[114:115], v[80:81], s[4:5], -v[114:115]
	v_fma_f64 v[120:121], v[86:87], s[4:5], v[120:121]
	;; [unrolled: 4-line block ×3, first 2 shown]
	v_fma_f64 v[203:204], v[76:77], s[10:11], -v[124:125]
	v_fma_f64 v[112:113], v[72:73], s[10:11], -v[112:113]
	v_fma_f64 v[124:125], v[76:77], s[10:11], v[124:125]
	v_fma_f64 v[205:206], v[80:81], s[14:15], v[161:162]
	v_fma_f64 v[207:208], v[86:87], s[14:15], -v[171:172]
	v_fma_f64 v[161:162], v[80:81], s[14:15], -v[161:162]
	v_mul_f64 v[195:196], v[98:99], s[26:27]
	v_add_f64 v[209:210], v[18:19], v[14:15]
	v_add_f64 v[211:212], v[16:17], v[12:13]
	v_fma_f64 v[14:15], v[64:65], s[28:29], v[110:111]
	v_add_f64 v[151:152], v[2:3], v[151:152]
	v_add_f64 v[153:154], v[0:1], v[153:154]
	;; [unrolled: 1-line block ×4, first 2 shown]
	v_fma_f64 v[16:17], v[68:69], s[28:29], -v[122:123]
	v_fma_f64 v[18:19], v[64:65], s[28:29], -v[110:111]
	v_fma_f64 v[110:111], v[68:69], s[28:29], v[122:123]
	v_fma_f64 v[122:123], v[72:73], s[28:29], v[159:160]
	v_add_f64 v[181:182], v[2:3], v[181:182]
	v_add_f64 v[183:184], v[0:1], v[183:184]
	;; [unrolled: 1-line block ×3, first 2 shown]
	v_fma_f64 v[213:214], v[76:77], s[28:29], -v[169:170]
	v_fma_f64 v[159:160], v[72:73], s[28:29], -v[159:160]
	v_fma_f64 v[147:148], v[90:91], s[10:11], v[147:148]
	v_add_f64 v[52:53], v[26:27], v[38:39]
	v_add_f64 v[54:55], v[24:25], v[36:37]
	v_mul_f64 v[106:107], v[58:59], s[24:25]
	v_mul_f64 v[116:117], v[62:63], s[24:25]
	;; [unrolled: 1-line block ×6, first 2 shown]
	v_add_f64 v[151:152], v[177:178], v[151:152]
	v_add_f64 v[153:154], v[179:180], v[153:154]
	;; [unrolled: 1-line block ×4, first 2 shown]
	v_mul_f64 v[114:115], v[84:85], s[30:31]
	v_mul_f64 v[199:200], v[94:95], s[16:17]
	;; [unrolled: 1-line block ×3, first 2 shown]
	v_fma_f64 v[171:172], v[86:87], s[14:15], v[171:172]
	v_add_f64 v[181:182], v[205:206], v[181:182]
	v_add_f64 v[183:184], v[207:208], v[183:184]
	;; [unrolled: 1-line block ×3, first 2 shown]
	v_fma_f64 v[207:208], v[92:93], s[18:19], v[187:188]
	v_fma_f64 v[161:162], v[60:61], s[18:19], -v[118:119]
	v_fma_f64 v[118:119], v[60:61], s[18:19], v[118:119]
	v_fma_f64 v[205:206], v[68:69], s[6:7], -v[167:168]
	v_fma_f64 v[215:216], v[90:91], s[18:19], -v[195:196]
	v_add_f64 v[147:148], v[0:1], v[147:148]
	v_mul_f64 v[163:164], v[62:63], s[26:27]
	v_mul_f64 v[173:174], v[74:75], s[30:31]
	;; [unrolled: 1-line block ×5, first 2 shown]
	v_add_f64 v[151:152], v[201:202], v[151:152]
	v_add_f64 v[153:154], v[203:204], v[153:154]
	;; [unrolled: 1-line block ×4, first 2 shown]
	v_fma_f64 v[112:113], v[56:57], s[18:19], v[108:109]
	v_fma_f64 v[108:109], v[56:57], s[18:19], -v[108:109]
	v_fma_f64 v[203:204], v[64:65], s[6:7], v[157:158]
	v_fma_f64 v[157:158], v[64:65], s[6:7], -v[157:158]
	v_add_f64 v[122:123], v[122:123], v[181:182]
	v_add_f64 v[181:182], v[213:214], v[183:184]
	;; [unrolled: 1-line block ×3, first 2 shown]
	v_fma_f64 v[159:160], v[90:91], s[18:19], v[195:196]
	v_fma_f64 v[183:184], v[80:81], s[10:11], v[185:186]
	;; [unrolled: 1-line block ×3, first 2 shown]
	v_add_f64 v[207:208], v[2:3], v[207:208]
	v_fma_f64 v[12:13], v[52:53], s[14:15], v[106:107]
	v_fma_f64 v[124:125], v[54:55], s[14:15], -v[116:117]
	v_fma_f64 v[106:107], v[52:53], s[14:15], -v[106:107]
	v_fma_f64 v[116:117], v[54:55], s[14:15], v[116:117]
	v_fma_f64 v[213:214], v[90:91], s[14:15], -v[179:180]
	v_add_f64 v[215:216], v[0:1], v[215:216]
	v_add_f64 v[147:148], v[171:172], v[147:148]
	;; [unrolled: 1-line block ×6, first 2 shown]
	v_fma_f64 v[153:154], v[92:93], s[18:19], -v[187:188]
	v_fma_f64 v[102:103], v[56:57], s[4:5], v[155:156]
	v_fma_f64 v[151:152], v[60:61], s[4:5], -v[165:166]
	v_fma_f64 v[155:156], v[56:57], s[4:5], -v[155:156]
	;; [unrolled: 1-line block ×3, first 2 shown]
	v_add_f64 v[122:123], v[203:204], v[122:123]
	v_add_f64 v[171:172], v[205:206], v[181:182]
	;; [unrolled: 1-line block ×3, first 2 shown]
	v_fma_f64 v[157:158], v[86:87], s[10:11], v[193:194]
	v_add_f64 v[159:160], v[0:1], v[159:160]
	v_add_f64 v[183:184], v[183:184], v[207:208]
	;; [unrolled: 1-line block ×4, first 2 shown]
	v_mul_f64 v[189:190], v[78:79], s[30:31]
	v_mul_f64 v[120:121], v[88:89], s[44:45]
	v_fma_f64 v[110:111], v[54:55], s[18:19], -v[163:164]
	v_fma_f64 v[169:170], v[76:77], s[28:29], v[169:170]
	v_fma_f64 v[181:182], v[86:87], s[6:7], -v[177:178]
	v_add_f64 v[14:15], v[112:113], v[14:15]
	v_add_f64 v[16:17], v[161:162], v[16:17]
	;; [unrolled: 1-line block ×4, first 2 shown]
	v_fma_f64 v[112:113], v[68:69], s[6:7], v[167:168]
	v_fma_f64 v[118:119], v[80:81], s[10:11], -v[185:186]
	v_add_f64 v[153:154], v[2:3], v[153:154]
	v_fma_f64 v[161:162], v[72:73], s[4:5], v[175:176]
	v_fma_f64 v[167:168], v[80:81], s[6:7], v[199:200]
	v_add_f64 v[185:186], v[2:3], v[195:196]
	v_fma_f64 v[108:109], v[54:55], s[18:19], v[163:164]
	v_fma_f64 v[163:164], v[76:77], s[4:5], -v[191:192]
	v_add_f64 v[193:194], v[0:1], v[213:214]
	v_add_f64 v[187:188], v[187:188], v[215:216]
	;; [unrolled: 1-line block ×5, first 2 shown]
	v_fma_f64 v[114:115], v[92:93], s[14:15], -v[114:115]
	v_mul_f64 v[151:152], v[66:67], s[42:43]
	v_mul_f64 v[155:156], v[74:75], s[20:21]
	v_add_f64 v[6:7], v[6:7], v[10:11]
	v_add_f64 v[4:5], v[4:5], v[8:9]
	;; [unrolled: 1-line block ×6, first 2 shown]
	v_fma_f64 v[106:107], v[72:73], s[4:5], -v[175:176]
	v_add_f64 v[124:125], v[157:158], v[159:160]
	v_add_f64 v[116:117], v[118:119], v[153:154]
	v_fma_f64 v[118:119], v[76:77], s[4:5], v[191:192]
	v_fma_f64 v[153:154], v[64:65], s[14:15], v[173:174]
	;; [unrolled: 1-line block ×3, first 2 shown]
	v_add_f64 v[159:160], v[167:168], v[185:186]
	v_add_f64 v[161:162], v[161:162], v[183:184]
	;; [unrolled: 1-line block ×3, first 2 shown]
	v_fma_f64 v[100:101], v[60:61], s[4:5], v[165:166]
	v_mul_f64 v[165:166], v[70:71], s[42:43]
	v_mul_f64 v[167:168], v[78:79], s[20:21]
	v_fma_f64 v[169:170], v[76:77], s[18:19], -v[120:121]
	v_add_f64 v[171:172], v[181:182], v[193:194]
	v_fma_f64 v[175:176], v[68:69], s[14:15], -v[189:190]
	v_add_f64 v[163:164], v[163:164], v[187:188]
	v_fma_f64 v[173:174], v[64:65], s[14:15], -v[173:174]
	v_fma_f64 v[181:182], v[80:81], s[6:7], -v[199:200]
	v_add_f64 v[114:115], v[2:3], v[114:115]
	v_fma_f64 v[179:180], v[90:91], s[14:15], v[179:180]
	v_mul_f64 v[183:184], v[66:67], s[36:37]
	v_fma_f64 v[185:186], v[64:65], s[4:5], v[155:156]
	v_add_f64 v[6:7], v[6:7], v[22:23]
	v_add_f64 v[4:5], v[4:5], v[20:21]
	;; [unrolled: 1-line block ×3, first 2 shown]
	v_fma_f64 v[116:117], v[68:69], s[14:15], v[189:190]
	v_add_f64 v[118:119], v[118:119], v[124:125]
	v_fma_f64 v[124:125], v[56:57], s[6:7], v[151:152]
	v_add_f64 v[157:158], v[157:158], v[159:160]
	v_add_f64 v[153:154], v[153:154], v[161:162]
	;; [unrolled: 1-line block ×3, first 2 shown]
	v_mul_f64 v[147:148], v[58:59], s[40:41]
	v_mul_f64 v[159:160], v[62:63], s[40:41]
	;; [unrolled: 1-line block ×3, first 2 shown]
	v_fma_f64 v[187:188], v[68:69], s[4:5], -v[167:168]
	v_add_f64 v[169:170], v[169:170], v[171:172]
	v_fma_f64 v[171:172], v[60:61], s[6:7], -v[165:166]
	v_add_f64 v[163:164], v[175:176], v[163:164]
	v_fma_f64 v[8:9], v[56:57], s[6:7], -v[151:152]
	v_fma_f64 v[10:11], v[72:73], s[18:19], -v[197:198]
	v_add_f64 v[114:115], v[181:182], v[114:115]
	v_fma_f64 v[151:152], v[60:61], s[6:7], v[165:166]
	v_add_f64 v[165:166], v[0:1], v[179:180]
	v_fma_f64 v[175:176], v[56:57], s[28:29], v[183:184]
	v_mul_f64 v[20:21], v[98:99], s[38:39]
	v_mul_f64 v[22:23], v[98:99], s[36:37]
	v_add_f64 v[106:107], v[173:174], v[106:107]
	v_add_f64 v[6:7], v[6:7], v[26:27]
	;; [unrolled: 1-line block ×3, first 2 shown]
	v_fma_f64 v[118:119], v[86:87], s[6:7], v[177:178]
	v_add_f64 v[157:158], v[185:186], v[157:158]
	v_add_f64 v[124:125], v[124:125], v[153:154]
	v_mul_f64 v[153:154], v[84:85], s[36:37]
	v_mul_f64 v[84:85], v[84:85], s[38:39]
	v_add_f64 v[4:5], v[4:5], v[24:25]
	v_add_f64 v[100:101], v[100:101], v[112:113]
	v_fma_f64 v[112:113], v[52:53], s[28:29], v[147:148]
	v_fma_f64 v[179:180], v[60:61], s[28:29], -v[161:162]
	v_add_f64 v[169:170], v[187:188], v[169:170]
	v_fma_f64 v[181:182], v[54:55], s[28:29], -v[159:160]
	v_fma_f64 v[98:99], v[52:53], s[28:29], -v[147:148]
	;; [unrolled: 1-line block ×3, first 2 shown]
	v_add_f64 v[10:11], v[10:11], v[114:115]
	v_fma_f64 v[114:115], v[76:77], s[18:19], v[120:121]
	v_add_f64 v[163:164], v[171:172], v[163:164]
	v_fma_f64 v[171:172], v[56:57], s[28:29], -v[183:184]
	v_fma_f64 v[24:25], v[90:91], s[4:5], v[20:21]
	v_fma_f64 v[26:27], v[90:91], s[28:29], v[22:23]
	v_add_f64 v[8:9], v[8:9], v[106:107]
	v_fma_f64 v[106:107], v[54:55], s[28:29], v[159:160]
	v_fma_f64 v[22:23], v[90:91], s[28:29], -v[22:23]
	v_add_f64 v[118:119], v[118:119], v[165:166]
	v_add_f64 v[147:148], v[175:176], v[157:158]
	v_mul_f64 v[157:158], v[94:95], s[26:27]
	v_fma_f64 v[159:160], v[92:93], s[28:29], -v[153:154]
	v_mul_f64 v[165:166], v[96:97], s[26:27]
	v_mul_f64 v[94:95], v[94:95], s[36:37]
	v_fma_f64 v[175:176], v[92:93], s[4:5], -v[84:85]
	v_mul_f64 v[96:97], v[96:97], s[36:37]
	v_fma_f64 v[153:154], v[92:93], s[28:29], v[153:154]
	v_fma_f64 v[84:85], v[92:93], s[4:5], v[84:85]
	v_fma_f64 v[20:21], v[90:91], s[4:5], -v[20:21]
	v_add_f64 v[6:7], v[6:7], v[38:39]
	v_add_f64 v[4:5], v[4:5], v[36:37]
	;; [unrolled: 1-line block ×3, first 2 shown]
	v_mul_f64 v[92:93], v[82:83], s[16:17]
	v_mul_f64 v[90:91], v[88:89], s[16:17]
	;; [unrolled: 1-line block ×4, first 2 shown]
	v_add_f64 v[24:25], v[0:1], v[24:25]
	v_add_f64 v[10:11], v[155:156], v[10:11]
	v_fma_f64 v[155:156], v[60:61], s[28:29], v[161:162]
	v_fma_f64 v[161:162], v[68:69], s[4:5], v[167:168]
	v_add_f64 v[114:115], v[114:115], v[118:119]
	v_add_f64 v[26:27], v[0:1], v[26:27]
	v_fma_f64 v[118:119], v[80:81], s[18:19], -v[157:158]
	v_add_f64 v[159:160], v[2:3], v[159:160]
	v_fma_f64 v[167:168], v[86:87], s[18:19], v[165:166]
	v_fma_f64 v[179:180], v[80:81], s[28:29], -v[94:95]
	v_add_f64 v[175:176], v[2:3], v[175:176]
	v_fma_f64 v[183:184], v[86:87], s[28:29], v[96:97]
	v_fma_f64 v[38:39], v[80:81], s[18:19], v[157:158]
	v_add_f64 v[153:154], v[2:3], v[153:154]
	v_fma_f64 v[157:158], v[86:87], s[18:19], -v[165:166]
	v_add_f64 v[22:23], v[0:1], v[22:23]
	v_fma_f64 v[80:81], v[80:81], s[28:29], v[94:95]
	v_add_f64 v[2:3], v[2:3], v[84:85]
	v_fma_f64 v[84:85], v[86:87], s[28:29], -v[96:97]
	v_add_f64 v[0:1], v[0:1], v[20:21]
	v_add_f64 v[6:7], v[6:7], v[30:31]
	;; [unrolled: 1-line block ×3, first 2 shown]
	v_mul_f64 v[36:37], v[74:75], s[34:35]
	v_mul_f64 v[20:21], v[78:79], s[34:35]
	v_fma_f64 v[86:87], v[72:73], s[6:7], -v[92:93]
	v_mul_f64 v[74:75], v[74:75], s[26:27]
	v_mul_f64 v[78:79], v[78:79], s[26:27]
	v_fma_f64 v[165:166], v[76:77], s[14:15], v[88:89]
	v_fma_f64 v[96:97], v[76:77], s[6:7], v[90:91]
	v_add_f64 v[94:95], v[118:119], v[159:160]
	v_fma_f64 v[118:119], v[72:73], s[14:15], -v[82:83]
	v_add_f64 v[26:27], v[167:168], v[26:27]
	v_add_f64 v[159:160], v[179:180], v[175:176]
	;; [unrolled: 1-line block ×3, first 2 shown]
	v_fma_f64 v[30:31], v[72:73], s[6:7], v[92:93]
	v_add_f64 v[38:39], v[38:39], v[153:154]
	v_fma_f64 v[90:91], v[76:77], s[6:7], -v[90:91]
	v_add_f64 v[22:23], v[157:158], v[22:23]
	v_fma_f64 v[72:73], v[72:73], s[14:15], v[82:83]
	v_add_f64 v[2:3], v[80:81], v[2:3]
	v_fma_f64 v[76:77], v[76:77], s[14:15], -v[88:89]
	v_add_f64 v[0:1], v[84:85], v[0:1]
	v_add_f64 v[6:7], v[6:7], v[34:35]
	;; [unrolled: 1-line block ×3, first 2 shown]
	v_mul_f64 v[28:29], v[66:67], s[24:25]
	v_mul_f64 v[80:81], v[70:71], s[24:25]
	v_fma_f64 v[82:83], v[64:65], s[10:11], -v[36:37]
	v_mul_f64 v[66:67], v[66:67], s[22:23]
	v_mul_f64 v[70:71], v[70:71], s[22:23]
	v_fma_f64 v[88:89], v[64:65], s[18:19], -v[74:75]
	v_fma_f64 v[34:35], v[64:65], s[10:11], v[36:37]
	v_add_f64 v[84:85], v[86:87], v[94:95]
	v_fma_f64 v[94:95], v[68:69], s[18:19], v[78:79]
	v_fma_f64 v[86:87], v[68:69], s[10:11], v[20:21]
	v_add_f64 v[92:93], v[118:119], v[159:160]
	v_add_f64 v[24:25], v[165:166], v[24:25]
	;; [unrolled: 1-line block ×4, first 2 shown]
	v_fma_f64 v[20:21], v[68:69], s[10:11], -v[20:21]
	v_add_f64 v[22:23], v[90:91], v[22:23]
	v_fma_f64 v[36:37], v[64:65], s[18:19], v[74:75]
	v_add_f64 v[2:3], v[72:73], v[2:3]
	v_fma_f64 v[38:39], v[68:69], s[18:19], -v[78:79]
	v_add_f64 v[0:1], v[76:77], v[0:1]
	v_mul_f64 v[173:174], v[58:59], s[22:23]
	v_add_f64 v[6:7], v[6:7], v[50:51]
	v_add_f64 v[4:5], v[4:5], v[48:49]
	v_mul_f64 v[149:150], v[58:59], s[26:27]
	v_mul_f64 v[177:178], v[62:63], s[22:23]
	;; [unrolled: 1-line block ×4, first 2 shown]
	v_fma_f64 v[68:69], v[56:57], s[14:15], -v[28:29]
	v_mul_f64 v[58:59], v[58:59], s[16:17]
	v_add_f64 v[72:73], v[82:83], v[84:85]
	v_mul_f64 v[62:63], v[62:63], s[16:17]
	v_fma_f64 v[76:77], v[56:57], s[10:11], -v[66:67]
	v_add_f64 v[78:79], v[88:89], v[92:93]
	v_fma_f64 v[82:83], v[60:61], s[10:11], v[70:71]
	v_add_f64 v[24:25], v[94:95], v[24:25]
	v_fma_f64 v[74:75], v[60:61], s[14:15], v[80:81]
	v_add_f64 v[26:27], v[86:87], v[26:27]
	v_add_f64 v[48:49], v[161:162], v[114:115]
	v_fma_f64 v[28:29], v[56:57], s[14:15], v[28:29]
	v_add_f64 v[30:31], v[34:35], v[30:31]
	v_fma_f64 v[34:35], v[60:61], s[14:15], -v[80:81]
	v_add_f64 v[20:21], v[20:21], v[22:23]
	v_fma_f64 v[22:23], v[56:57], s[10:11], v[66:67]
	v_add_f64 v[2:3], v[36:37], v[2:3]
	v_fma_f64 v[36:37], v[60:61], s[10:11], -v[70:71]
	v_add_f64 v[0:1], v[38:39], v[0:1]
	v_fma_f64 v[38:39], v[52:53], s[10:11], -v[173:174]
	v_add_f64 v[50:51], v[171:172], v[10:11]
	v_add_f64 v[46:47], v[6:7], v[46:47]
	;; [unrolled: 1-line block ×3, first 2 shown]
	v_fma_f64 v[70:71], v[52:53], s[6:7], -v[58:59]
	v_add_f64 v[66:67], v[68:69], v[72:73]
	v_fma_f64 v[60:61], v[52:53], s[4:5], -v[32:33]
	v_fma_f64 v[68:69], v[54:55], s[4:5], v[64:65]
	v_add_f64 v[72:73], v[76:77], v[78:79]
	v_fma_f64 v[76:77], v[54:55], s[6:7], v[62:63]
	v_add_f64 v[24:25], v[82:83], v[24:25]
	;; [unrolled: 2-line block ×3, first 2 shown]
	v_add_f64 v[48:49], v[155:156], v[48:49]
	v_add_f64 v[116:117], v[151:152], v[116:117]
	v_fma_f64 v[201:202], v[52:53], s[18:19], v[149:150]
	v_fma_f64 v[149:150], v[52:53], s[18:19], -v[149:150]
	v_fma_f64 v[120:121], v[52:53], s[10:11], v[173:174]
	v_fma_f64 v[151:152], v[54:55], s[10:11], -v[177:178]
	v_fma_f64 v[78:79], v[52:53], s[4:5], v[32:33]
	v_add_f64 v[80:81], v[28:29], v[30:31]
	v_fma_f64 v[64:65], v[54:55], s[4:5], -v[64:65]
	v_add_f64 v[82:83], v[34:35], v[20:21]
	v_fma_f64 v[52:53], v[52:53], s[6:7], v[58:59]
	v_add_f64 v[58:59], v[22:23], v[2:3]
	v_fma_f64 v[54:55], v[54:55], s[6:7], -v[62:63]
	v_add_f64 v[62:63], v[36:37], v[0:1]
	v_add_f64 v[26:27], v[38:39], v[50:51]
	v_add_f64 v[38:39], v[46:47], v[42:43]
	v_add_f64 v[36:37], v[44:45], v[40:41]
	v_add_f64 v[34:35], v[70:71], v[72:73]
	v_add_f64 v[30:31], v[60:61], v[66:67]
	v_add_f64 v[32:33], v[76:77], v[24:25]
	v_add_f64 v[22:23], v[98:99], v[8:9]
	v_add_f64 v[28:29], v[68:69], v[74:75]
	v_add_f64 v[24:25], v[56:57], v[48:49]
	v_add_f64 v[20:21], v[106:107], v[116:117]
	v_add_f64 v[4:5], v[108:109], v[100:101]
	v_add_f64 v[6:7], v[149:150], v[145:146]
	v_add_f64 v[2:3], v[201:202], v[102:103]
	v_add_f64 v[0:1], v[110:111], v[122:123]
	v_add_f64 v[10:11], v[112:113], v[124:125]
	v_add_f64 v[8:9], v[181:182], v[163:164]
	v_add_f64 v[42:43], v[120:121], v[147:148]
	v_add_f64 v[40:41], v[151:152], v[169:170]
	v_add_f64 v[46:47], v[78:79], v[80:81]
	v_add_f64 v[44:45], v[64:65], v[82:83]
	v_add_f64 v[50:51], v[52:53], v[58:59]
	v_add_f64 v[48:49], v[54:55], v[62:63]
	v_mul_i32_i24_e32 v52, 0xd0, v144
	v_add3_u32 v52, 0, v52, v143
	ds_write_b128 v52, v[36:39]
	ds_write_b128 v52, v[32:35] offset:16
	ds_write_b128 v52, v[28:31] offset:32
	;; [unrolled: 1-line block ×12, first 2 shown]
.LBB0_15:
	s_or_b32 exec_lo, exec_lo, s1
	v_and_b32_e32 v2, 0xff, v140
	v_lshlrev_b32_e32 v88, 2, v138
	v_mov_b32_e32 v89, 0
	s_waitcnt lgkmcnt(0)
	s_barrier
	v_mul_lo_u16 v2, 0x4f, v2
	buffer_gl0_inv
	v_lshlrev_b64 v[0:1], 4, v[88:89]
	v_lshlrev_b32_e32 v88, 1, v138
	v_lshlrev_b32_e32 v90, 4, v144
	v_lshrrev_b16 v2, 10, v2
	s_mov_b32 s6, 0x134454ff
	s_mov_b32 s7, 0xbfee6f0e
	v_add_co_u32 v0, s0, s8, v0
	v_add_co_ci_u32_e64 v1, s0, s9, v1, s0
	v_mul_lo_u16 v2, v2, 13
	v_lshlrev_b64 v[96:97], 4, v[88:89]
	v_lshlrev_b32_e32 v88, 1, v144
	s_clause 0x3
	global_load_dwordx4 v[20:23], v[0:1], off
	global_load_dwordx4 v[16:19], v[0:1], off offset:16
	global_load_dwordx4 v[8:11], v[0:1], off offset:48
	;; [unrolled: 1-line block ×3, first 2 shown]
	v_mov_b32_e32 v0, 6
	v_sub_nc_u16 v91, v140, v2
	v_add3_u32 v90, 0, v90, v143
	s_mov_b32 s17, 0x3fee6f0e
	s_mov_b32 s16, s6
	;; [unrolled: 1-line block ×3, first 2 shown]
	v_lshlrev_b32_sdwa v0, v0, v91 dst_sel:DWORD dst_unused:UNUSED_PAD src0_sel:DWORD src1_sel:BYTE_0
	s_mov_b32 s5, 0xbfe2cf23
	s_clause 0x3
	global_load_dwordx4 v[36:39], v0, s[8:9]
	global_load_dwordx4 v[32:35], v0, s[8:9] offset:16
	global_load_dwordx4 v[28:31], v0, s[8:9] offset:32
	;; [unrolled: 1-line block ×3, first 2 shown]
	ds_read_b128 v[80:83], v142 offset:624
	ds_read_b128 v[60:63], v142 offset:832
	;; [unrolled: 1-line block ×4, first 2 shown]
	ds_read_b128 v[4:7], v141
	ds_read_b128 v[0:3], v142 offset:416
	ds_read_b128 v[84:87], v142 offset:1248
	;; [unrolled: 1-line block ×9, first 2 shown]
	ds_read_b128 v[92:95], v90
	s_mov_b32 s15, 0x3fe2cf23
	s_mov_b32 s14, s4
	v_mov_b32_e32 v102, 4
	s_mov_b32 s10, 0x372fe950
	s_mov_b32 s11, 0x3fd3c6ef
	v_lshlrev_b64 v[98:99], 4, v[88:89]
	v_lshlrev_b32_e32 v88, 1, v140
	v_lshlrev_b32_sdwa v188, v102, v91 dst_sel:DWORD dst_unused:UNUSED_PAD src0_sel:DWORD src1_sel:BYTE_0
	v_add_co_u32 v96, s0, s8, v96
	v_add_co_ci_u32_e64 v97, s0, s9, v97, s0
	v_lshlrev_b64 v[100:101], 4, v[88:89]
	v_lshlrev_b32_e32 v88, 1, v137
	v_add_co_u32 v98, s0, s8, v98
	v_add_co_ci_u32_e64 v99, s0, s9, v99, s0
	v_lshlrev_b64 v[102:103], 4, v[88:89]
	v_lshlrev_b32_e32 v88, 1, v135
	s_waitcnt vmcnt(0) lgkmcnt(0)
	s_barrier
	buffer_gl0_inv
	v_mul_f64 v[110:111], v[86:87], v[18:19]
	v_mul_f64 v[106:107], v[82:83], v[22:23]
	;; [unrolled: 1-line block ×24, first 2 shown]
	v_fma_f64 v[80:81], v[80:81], v[20:21], v[106:107]
	v_fma_f64 v[84:85], v[84:85], v[16:17], v[110:111]
	v_fma_f64 v[86:87], v[86:87], v[16:17], -v[112:113]
	v_fma_f64 v[76:77], v[76:77], v[12:13], v[114:115]
	v_fma_f64 v[78:79], v[78:79], v[12:13], -v[116:117]
	;; [unrolled: 2-line block ×3, first 2 shown]
	v_fma_f64 v[74:75], v[74:75], v[8:9], -v[120:121]
	v_fma_f64 v[60:61], v[60:61], v[20:21], v[122:123]
	v_fma_f64 v[20:21], v[62:63], v[20:21], -v[22:23]
	v_fma_f64 v[22:23], v[64:65], v[16:17], v[124:125]
	;; [unrolled: 2-line block ×8, first 2 shown]
	v_fma_f64 v[24:25], v[58:59], v[24:25], -v[26:27]
	v_add_f64 v[26:27], v[4:5], v[80:81]
	v_add_f64 v[40:41], v[84:85], v[76:77]
	v_add_f64 v[46:47], v[80:81], -v[84:85]
	v_add_f64 v[48:49], v[72:73], -v[76:77]
	;; [unrolled: 1-line block ×4, first 2 shown]
	v_add_f64 v[58:59], v[86:87], v[78:79]
	v_add_f64 v[50:51], v[80:81], v[72:73]
	v_add_f64 v[56:57], v[6:7], v[82:83]
	v_add_f64 v[70:71], v[82:83], v[74:75]
	v_add_f64 v[42:43], v[82:83], -v[74:75]
	v_add_f64 v[62:63], v[80:81], -v[72:73]
	;; [unrolled: 1-line block ×5, first 2 shown]
	v_add_f64 v[106:107], v[92:93], v[60:61]
	v_add_f64 v[108:109], v[22:23], v[18:19]
	;; [unrolled: 1-line block ×4, first 2 shown]
	v_add_f64 v[68:69], v[74:75], -v[78:79]
	v_add_f64 v[118:119], v[60:61], v[14:15]
	v_add_f64 v[152:153], v[20:21], v[8:9]
	v_add_f64 v[110:111], v[20:21], -v[8:9]
	v_add_f64 v[148:149], v[20:21], -v[16:17]
	;; [unrolled: 1-line block ×4, first 2 shown]
	v_add_f64 v[156:157], v[0:1], v[10:11]
	v_add_f64 v[158:159], v[38:39], v[34:35]
	;; [unrolled: 1-line block ×6, first 2 shown]
	v_add_f64 v[114:115], v[60:61], -v[22:23]
	v_add_f64 v[116:117], v[14:15], -v[18:19]
	;; [unrolled: 1-line block ×10, first 2 shown]
	v_add_f64 v[26:27], v[26:27], v[84:85]
	v_fma_f64 v[40:41], v[40:41], -0.5, v[4:5]
	v_add_f64 v[46:47], v[46:47], v[48:49]
	v_add_f64 v[48:49], v[52:53], v[54:55]
	v_fma_f64 v[52:53], v[58:59], -0.5, v[6:7]
	v_add_f64 v[44:45], v[86:87], -v[78:79]
	v_add_f64 v[64:65], v[84:85], -v[76:77]
	v_fma_f64 v[4:5], v[50:51], -0.5, v[4:5]
	v_add_f64 v[50:51], v[56:57], v[86:87]
	v_fma_f64 v[6:7], v[70:71], -0.5, v[6:7]
	v_add_f64 v[112:113], v[16:17], -v[12:13]
	v_add_f64 v[120:121], v[22:23], -v[60:61]
	;; [unrolled: 1-line block ×4, first 2 shown]
	v_add_f64 v[56:57], v[80:81], v[82:83]
	v_add_f64 v[22:23], v[106:107], v[22:23]
	v_fma_f64 v[58:59], v[108:109], -0.5, v[92:93]
	v_add_f64 v[16:17], v[124:125], v[16:17]
	v_fma_f64 v[80:81], v[144:145], -0.5, v[94:95]
	;; [unrolled: 2-line block ×3, first 2 shown]
	v_fma_f64 v[84:85], v[152:153], -0.5, v[94:95]
	v_add_f64 v[162:163], v[32:33], -v[28:29]
	v_add_f64 v[180:181], v[38:39], -v[34:35]
	v_add_f64 v[86:87], v[20:21], v[154:155]
	v_add_f64 v[20:21], v[156:157], v[38:39]
	v_fma_f64 v[38:39], v[158:159], -0.5, v[0:1]
	v_add_f64 v[32:33], v[174:175], v[32:33]
	v_fma_f64 v[106:107], v[176:177], -0.5, v[2:3]
	v_add_f64 v[122:123], v[18:19], -v[14:15]
	v_fma_f64 v[0:1], v[168:169], -0.5, v[0:1]
	v_fma_f64 v[2:3], v[184:185], -0.5, v[2:3]
	v_add_f64 v[66:67], v[114:115], v[116:117]
	v_add_f64 v[108:109], v[10:11], v[182:183]
	;; [unrolled: 1-line block ×4, first 2 shown]
	v_fma_f64 v[26:27], v[42:43], s[6:7], v[40:41]
	v_fma_f64 v[36:37], v[42:43], s[16:17], v[40:41]
	;; [unrolled: 1-line block ×4, first 2 shown]
	v_add_f64 v[50:51], v[50:51], v[78:79]
	v_fma_f64 v[52:53], v[62:63], s[6:7], v[52:53]
	v_fma_f64 v[78:79], v[64:65], s[6:7], v[6:7]
	;; [unrolled: 1-line block ×4, first 2 shown]
	v_add_f64 v[150:151], v[8:9], -v[12:13]
	v_add_f64 v[18:19], v[22:23], v[18:19]
	v_fma_f64 v[22:23], v[110:111], s[6:7], v[58:59]
	v_add_f64 v[12:13], v[16:17], v[12:13]
	v_fma_f64 v[16:17], v[60:61], s[16:17], v[80:81]
	v_fma_f64 v[116:117], v[112:113], s[16:17], v[68:69]
	;; [unrolled: 1-line block ×7, first 2 shown]
	v_add_f64 v[166:167], v[30:31], -v[34:35]
	v_add_f64 v[172:173], v[34:35], -v[30:31]
	v_add_f64 v[20:21], v[20:21], v[34:35]
	v_fma_f64 v[34:35], v[160:161], s[6:7], v[38:39]
	v_add_f64 v[28:29], v[32:33], v[28:29]
	v_fma_f64 v[32:33], v[178:179], s[16:17], v[106:107]
	;; [unrolled: 2-line block ×3, first 2 shown]
	v_fma_f64 v[124:125], v[180:181], s[6:7], v[2:3]
	v_fma_f64 v[122:123], v[162:163], s[6:7], v[0:1]
	;; [unrolled: 1-line block ×9, first 2 shown]
	v_add_f64 v[2:3], v[50:51], v[74:75]
	v_fma_f64 v[50:51], v[64:65], s[4:5], v[52:53]
	v_fma_f64 v[52:53], v[62:63], s[14:15], v[78:79]
	;; [unrolled: 1-line block ×4, first 2 shown]
	v_add_f64 v[82:83], v[148:149], v[150:151]
	v_fma_f64 v[64:65], v[112:113], s[4:5], v[22:23]
	v_fma_f64 v[74:75], v[146:147], s[14:15], v[16:17]
	v_add_f64 v[0:1], v[10:11], v[72:73]
	v_fma_f64 v[72:73], v[110:111], s[4:5], v[116:117]
	v_fma_f64 v[78:79], v[60:61], s[14:15], v[118:119]
	;; [unrolled: 1-line block ×6, first 2 shown]
	v_add_f64 v[91:92], v[164:165], v[166:167]
	v_fma_f64 v[80:81], v[162:163], s[4:5], v[34:35]
	v_fma_f64 v[116:117], v[180:181], s[14:15], v[32:33]
	v_add_f64 v[93:94], v[170:171], v[172:173]
	v_fma_f64 v[110:111], v[160:161], s[4:5], v[120:121]
	v_fma_f64 v[118:119], v[178:179], s[14:15], v[124:125]
	;; [unrolled: 1-line block ×6, first 2 shown]
	v_add_f64 v[4:5], v[18:19], v[14:15]
	v_add_f64 v[6:7], v[12:13], v[8:9]
	;; [unrolled: 1-line block ×4, first 2 shown]
	v_fma_f64 v[12:13], v[46:47], s[10:11], v[26:27]
	v_fma_f64 v[14:15], v[54:55], s[10:11], v[44:45]
	;; [unrolled: 1-line block ×24, first 2 shown]
	v_add3_u32 v62, 0, v188, v143
	v_add_co_u32 v60, s0, s8, v100
	ds_write_b128 v142, v[0:3]
	ds_write_b128 v142, v[4:7] offset:1040
	ds_write_b128 v62, v[8:11] offset:2080
	;; [unrolled: 1-line block ×14, first 2 shown]
	s_waitcnt lgkmcnt(0)
	s_barrier
	buffer_gl0_inv
	s_clause 0x1
	global_load_dwordx4 v[0:3], v[96:97], off offset:848
	global_load_dwordx4 v[4:7], v[96:97], off offset:832
	v_lshlrev_b64 v[24:25], 4, v[88:89]
	v_add_co_ci_u32_e64 v61, s0, s9, v101, s0
	s_clause 0x1
	global_load_dwordx4 v[8:11], v[98:99], off offset:848
	global_load_dwordx4 v[12:15], v[98:99], off offset:832
	v_add_co_u32 v28, s0, s8, v102
	v_add_co_ci_u32_e64 v29, s0, s9, v103, s0
	s_clause 0x1
	global_load_dwordx4 v[16:19], v[60:61], off offset:848
	global_load_dwordx4 v[20:23], v[60:61], off offset:832
	v_add_co_u32 v36, s0, s8, v24
	v_add_co_ci_u32_e64 v37, s0, s9, v25, s0
	s_clause 0x3
	global_load_dwordx4 v[24:27], v[28:29], off offset:832
	global_load_dwordx4 v[28:31], v[28:29], off offset:848
	;; [unrolled: 1-line block ×4, first 2 shown]
	ds_read_b128 v[40:43], v142 offset:1040
	ds_read_b128 v[44:47], v142 offset:2080
	ds_read_b128 v[48:51], v142 offset:1248
	ds_read_b128 v[52:55], v142 offset:2288
	ds_read_b128 v[56:59], v142 offset:1456
	ds_read_b128 v[60:63], v142 offset:2496
	ds_read_b128 v[64:67], v142 offset:1664
	ds_read_b128 v[68:71], v142 offset:2704
	ds_read_b128 v[72:75], v142 offset:1872
	ds_read_b128 v[76:79], v142 offset:2912
	ds_read_b128 v[80:83], v90
	s_mov_b32 s0, 0xe8584caa
	s_mov_b32 s1, 0xbfebb67a
	;; [unrolled: 1-line block ×4, first 2 shown]
	s_waitcnt vmcnt(9) lgkmcnt(9)
	v_mul_f64 v[86:87], v[46:47], v[2:3]
	s_waitcnt vmcnt(8)
	v_mul_f64 v[84:85], v[42:43], v[6:7]
	v_mul_f64 v[6:7], v[40:41], v[6:7]
	v_mul_f64 v[2:3], v[44:45], v[2:3]
	s_waitcnt vmcnt(7) lgkmcnt(7)
	v_mul_f64 v[91:92], v[54:55], v[10:11]
	s_waitcnt vmcnt(6)
	v_mul_f64 v[88:89], v[50:51], v[14:15]
	v_mul_f64 v[14:15], v[48:49], v[14:15]
	v_mul_f64 v[10:11], v[52:53], v[10:11]
	;; [unrolled: 6-line block ×3, first 2 shown]
	s_waitcnt vmcnt(3) lgkmcnt(4)
	v_mul_f64 v[97:98], v[66:67], v[26:27]
	v_mul_f64 v[26:27], v[64:65], v[26:27]
	s_waitcnt vmcnt(2) lgkmcnt(3)
	v_mul_f64 v[99:100], v[70:71], v[30:31]
	v_mul_f64 v[30:31], v[68:69], v[30:31]
	s_waitcnt vmcnt(1) lgkmcnt(2)
	v_mul_f64 v[101:102], v[74:75], v[34:35]
	v_mul_f64 v[34:35], v[72:73], v[34:35]
	s_waitcnt vmcnt(0) lgkmcnt(1)
	v_mul_f64 v[106:107], v[78:79], v[38:39]
	v_mul_f64 v[38:39], v[76:77], v[38:39]
	v_fma_f64 v[44:45], v[44:45], v[0:1], v[86:87]
	v_fma_f64 v[40:41], v[40:41], v[4:5], v[84:85]
	v_fma_f64 v[42:43], v[42:43], v[4:5], -v[6:7]
	v_fma_f64 v[46:47], v[46:47], v[0:1], -v[2:3]
	ds_read_b128 v[0:3], v141
	ds_read_b128 v[4:7], v142 offset:416
	v_fma_f64 v[48:49], v[48:49], v[12:13], v[88:89]
	v_fma_f64 v[50:51], v[50:51], v[12:13], -v[14:15]
	v_fma_f64 v[52:53], v[52:53], v[8:9], v[91:92]
	v_fma_f64 v[54:55], v[54:55], v[8:9], -v[10:11]
	ds_read_b128 v[8:11], v142 offset:624
	ds_read_b128 v[12:15], v142 offset:832
	v_fma_f64 v[56:57], v[56:57], v[20:21], v[93:94]
	v_fma_f64 v[20:21], v[58:59], v[20:21], -v[22:23]
	v_fma_f64 v[22:23], v[60:61], v[16:17], v[95:96]
	v_fma_f64 v[16:17], v[62:63], v[16:17], -v[18:19]
	;; [unrolled: 2-line block ×6, first 2 shown]
	s_waitcnt lgkmcnt(0)
	v_add_f64 v[58:59], v[40:41], v[44:45]
	v_add_f64 v[62:63], v[2:3], v[42:43]
	v_add_f64 v[60:61], v[42:43], -v[46:47]
	v_add_f64 v[42:43], v[42:43], v[46:47]
	v_add_f64 v[38:39], v[0:1], v[40:41]
	;; [unrolled: 1-line block ×4, first 2 shown]
	v_add_f64 v[68:69], v[50:51], -v[54:55]
	v_add_f64 v[50:51], v[50:51], v[54:55]
	v_add_f64 v[40:41], v[40:41], -v[44:45]
	v_add_f64 v[78:79], v[6:7], v[20:21]
	v_add_f64 v[74:75], v[56:57], v[22:23]
	v_add_f64 v[76:77], v[20:21], -v[16:17]
	v_add_f64 v[20:21], v[20:21], v[16:17]
	v_add_f64 v[72:73], v[4:5], v[56:57]
	;; [unrolled: 1-line block ×8, first 2 shown]
	v_add_f64 v[101:102], v[32:33], -v[36:37]
	v_fma_f64 v[58:59], v[58:59], -0.5, v[0:1]
	v_add_f64 v[91:92], v[24:25], -v[28:29]
	v_add_f64 v[24:25], v[10:11], v[24:25]
	v_fma_f64 v[32:33], v[42:43], -0.5, v[2:3]
	v_add_f64 v[64:65], v[80:81], v[48:49]
	v_add_f64 v[48:49], v[48:49], -v[52:53]
	v_add_f64 v[97:98], v[18:19], -v[26:27]
	v_add_f64 v[18:19], v[12:13], v[30:31]
	v_add_f64 v[106:107], v[30:31], -v[34:35]
	v_fma_f64 v[30:31], v[66:67], -0.5, v[80:81]
	v_add_f64 v[0:1], v[38:39], v[44:45]
	v_fma_f64 v[38:39], v[50:51], -0.5, v[82:83]
	v_add_f64 v[56:57], v[56:57], -v[22:23]
	v_fma_f64 v[42:43], v[74:75], -0.5, v[4:5]
	v_fma_f64 v[44:45], v[20:21], -0.5, v[6:7]
	v_add_f64 v[2:3], v[62:63], v[46:47]
	v_fma_f64 v[46:47], v[84:85], -0.5, v[8:9]
	v_fma_f64 v[50:51], v[88:89], -0.5, v[10:11]
	v_add_f64 v[6:7], v[70:71], v[54:55]
	;; [unrolled: 3-line block ×3, first 2 shown]
	v_fma_f64 v[20:21], v[60:61], s[0:1], v[58:59]
	v_add_f64 v[12:13], v[86:87], v[26:27]
	v_add_f64 v[14:15], v[24:25], v[28:29]
	v_fma_f64 v[22:23], v[40:41], s[4:5], v[32:33]
	v_fma_f64 v[24:25], v[60:61], s[4:5], v[58:59]
	;; [unrolled: 1-line block ×3, first 2 shown]
	v_add_f64 v[4:5], v[64:65], v[52:53]
	v_add_f64 v[10:11], v[78:79], v[16:17]
	;; [unrolled: 1-line block ×3, first 2 shown]
	v_fma_f64 v[28:29], v[68:69], s[0:1], v[30:31]
	v_fma_f64 v[32:33], v[68:69], s[4:5], v[30:31]
	;; [unrolled: 1-line block ×4, first 2 shown]
	v_add_f64 v[18:19], v[99:100], v[36:37]
	v_fma_f64 v[36:37], v[76:77], s[0:1], v[42:43]
	v_fma_f64 v[38:39], v[56:57], s[4:5], v[44:45]
	;; [unrolled: 1-line block ×12, first 2 shown]
	s_barrier
	buffer_gl0_inv
	ds_write_b128 v142, v[0:3]
	ds_write_b128 v142, v[20:23] offset:1040
	ds_write_b128 v142, v[24:27] offset:2080
	ds_write_b128 v90, v[4:7]
	ds_write_b128 v90, v[28:31] offset:1040
	ds_write_b128 v90, v[32:35] offset:2080
	ds_write_b128 v142, v[8:11] offset:416
	ds_write_b128 v142, v[36:39] offset:1456
	ds_write_b128 v142, v[40:43] offset:2496
	ds_write_b128 v142, v[12:15] offset:624
	ds_write_b128 v142, v[44:47] offset:1664
	ds_write_b128 v142, v[48:51] offset:2704
	ds_write_b128 v142, v[16:19] offset:832
	ds_write_b128 v142, v[52:55] offset:1872
	ds_write_b128 v142, v[56:59] offset:2912
	s_waitcnt lgkmcnt(0)
	s_barrier
	buffer_gl0_inv
	s_and_saveexec_b32 s0, vcc_lo
	s_cbranch_execz .LBB0_17
; %bb.16:
	v_mad_u64_u32 v[8:9], null, s2, v138, 0
	v_mad_u64_u32 v[12:13], null, s2, v139, 0
	;; [unrolled: 1-line block ×4, first 2 shown]
	v_mov_b32_e32 v0, v9
	v_mad_u64_u32 v[20:21], null, s2, v135, 0
	v_mov_b32_e32 v1, v13
	v_add_co_u32 v30, vcc_lo, s12, v104
	v_add_co_ci_u32_e32 v31, vcc_lo, s13, v105, vcc_lo
	v_mad_u64_u32 v[2:3], null, s3, v138, v[0:1]
	v_mov_b32_e32 v0, v15
	v_mad_u64_u32 v[24:25], null, s3, v137, v[19:20]
	v_mov_b32_e32 v19, v21
	v_mad_u64_u32 v[22:23], null, s2, v136, 0
	v_mad_u64_u32 v[10:11], null, s3, v139, v[1:2]
	v_mov_b32_e32 v9, v2
	v_mad_u64_u32 v[15:16], null, s3, v140, v[0:1]
	ds_read_b128 v[0:3], v141
	ds_read_b128 v[4:7], v141 offset:208
	v_mad_u64_u32 v[25:26], null, s3, v135, v[19:20]
	v_mov_b32_e32 v13, v10
	v_lshlrev_b64 v[16:17], 4, v[8:9]
	ds_read_b128 v[8:11], v141 offset:416
	v_lshlrev_b64 v[14:15], 4, v[14:15]
	v_mov_b32_e32 v19, v24
	v_lshlrev_b64 v[12:13], 4, v[12:13]
	v_mov_b32_e32 v21, v23
	v_add_co_u32 v16, vcc_lo, v30, v16
	v_add_co_ci_u32_e32 v17, vcc_lo, v31, v17, vcc_lo
	v_add_co_u32 v12, vcc_lo, v30, v12
	v_add_co_ci_u32_e32 v13, vcc_lo, v31, v13, vcc_lo
	v_add_co_u32 v14, vcc_lo, v30, v14
	s_waitcnt lgkmcnt(2)
	global_store_dwordx4 v[16:17], v[0:3], off
	s_waitcnt lgkmcnt(1)
	global_store_dwordx4 v[12:13], v[4:7], off
	v_lshlrev_b64 v[4:5], 4, v[18:19]
	v_add_co_ci_u32_e32 v15, vcc_lo, v31, v15, vcc_lo
	v_mad_u64_u32 v[26:27], null, s3, v136, v[21:22]
	ds_read_b128 v[0:3], v141 offset:624
	s_waitcnt lgkmcnt(1)
	global_store_dwordx4 v[14:15], v[8:11], off
	v_add_co_u32 v14, vcc_lo, v30, v4
	v_add_co_ci_u32_e32 v15, vcc_lo, v31, v5, vcc_lo
	ds_read_b128 v[4:7], v141 offset:832
	ds_read_b128 v[8:11], v141 offset:1040
	v_mov_b32_e32 v21, v25
	v_mad_u64_u32 v[12:13], null, s2, v134, 0
	v_mov_b32_e32 v23, v26
	v_lshlrev_b64 v[16:17], 4, v[20:21]
	v_mad_u64_u32 v[20:21], null, s2, v133, 0
	v_lshlrev_b64 v[18:19], 4, v[22:23]
	v_mad_u64_u32 v[22:23], null, s3, v134, v[13:14]
	v_add_co_u32 v16, vcc_lo, v30, v16
	v_add_co_ci_u32_e32 v17, vcc_lo, v31, v17, vcc_lo
	v_mad_u64_u32 v[23:24], null, s2, v132, 0
	v_add_co_u32 v18, vcc_lo, v30, v18
	v_add_co_ci_u32_e32 v19, vcc_lo, v31, v19, vcc_lo
	v_mov_b32_e32 v13, v22
	v_mad_u64_u32 v[21:22], null, s3, v133, v[21:22]
	s_waitcnt lgkmcnt(2)
	global_store_dwordx4 v[14:15], v[0:3], off
	s_waitcnt lgkmcnt(1)
	global_store_dwordx4 v[16:17], v[4:7], off
	s_waitcnt lgkmcnt(0)
	global_store_dwordx4 v[18:19], v[8:11], off
	v_mad_u64_u32 v[16:17], null, s2, v131, 0
	v_mov_b32_e32 v2, v24
	v_lshlrev_b64 v[0:1], 4, v[12:13]
	v_lshlrev_b64 v[10:11], 4, v[20:21]
	v_mad_u64_u32 v[8:9], null, s3, v132, v[2:3]
	v_mov_b32_e32 v9, v17
	v_add_co_u32 v18, vcc_lo, v30, v0
	v_add_co_ci_u32_e32 v19, vcc_lo, v31, v1, vcc_lo
	v_mad_u64_u32 v[20:21], null, s3, v131, v[9:10]
	v_mad_u64_u32 v[21:22], null, s2, v130, 0
	ds_read_b128 v[0:3], v141 offset:1248
	ds_read_b128 v[4:7], v141 offset:1456
	v_add_co_u32 v25, vcc_lo, v30, v10
	v_mov_b32_e32 v24, v8
	v_mov_b32_e32 v17, v20
	v_add_co_ci_u32_e32 v26, vcc_lo, v31, v11, vcc_lo
	v_mov_b32_e32 v20, v22
	ds_read_b128 v[8:11], v141 offset:1664
	ds_read_b128 v[12:15], v141 offset:1872
	v_lshlrev_b64 v[23:24], 4, v[23:24]
	v_lshlrev_b64 v[16:17], 4, v[16:17]
	v_mad_u64_u32 v[27:28], null, s3, v130, v[20:21]
	v_mad_u64_u32 v[28:29], null, s2, v129, 0
	v_add_co_u32 v23, vcc_lo, v30, v23
	v_add_co_ci_u32_e32 v24, vcc_lo, v31, v24, vcc_lo
	v_mov_b32_e32 v22, v27
	s_waitcnt lgkmcnt(3)
	global_store_dwordx4 v[18:19], v[0:3], off
	v_add_co_u32 v16, vcc_lo, v30, v16
	v_mov_b32_e32 v0, v29
	v_lshlrev_b64 v[1:2], 4, v[21:22]
	v_add_co_ci_u32_e32 v17, vcc_lo, v31, v17, vcc_lo
	s_waitcnt lgkmcnt(2)
	global_store_dwordx4 v[25:26], v[4:7], off
	s_waitcnt lgkmcnt(1)
	global_store_dwordx4 v[23:24], v[8:11], off
	;; [unrolled: 2-line block ×3, first 2 shown]
	v_mad_u64_u32 v[8:9], null, s2, v128, 0
	v_mad_u64_u32 v[3:4], null, s3, v129, v[0:1]
	;; [unrolled: 1-line block ×4, first 2 shown]
	v_mov_b32_e32 v0, v9
	v_add_co_u32 v22, vcc_lo, v30, v1
	v_mov_b32_e32 v29, v3
	v_add_co_ci_u32_e32 v23, vcc_lo, v31, v2, vcc_lo
	v_mad_u64_u32 v[9:10], null, s3, v128, v[0:1]
	v_lshlrev_b64 v[11:12], 4, v[28:29]
	v_mov_b32_e32 v10, v21
	v_mov_b32_e32 v13, v25
	ds_read_b128 v[0:3], v141 offset:2080
	ds_read_b128 v[4:7], v141 offset:2288
	v_mad_u64_u32 v[14:15], null, s3, v127, v[10:11]
	v_lshlrev_b64 v[28:29], 4, v[8:9]
	v_mad_u64_u32 v[25:26], null, s3, v126, v[13:14]
	v_add_co_u32 v26, vcc_lo, v30, v11
	v_add_co_ci_u32_e32 v27, vcc_lo, v31, v12, vcc_lo
	v_mov_b32_e32 v21, v14
	ds_read_b128 v[8:11], v141 offset:2496
	ds_read_b128 v[12:15], v141 offset:2704
	;; [unrolled: 1-line block ×3, first 2 shown]
	v_add_co_u32 v28, vcc_lo, v30, v28
	v_lshlrev_b64 v[24:25], 4, v[24:25]
	v_lshlrev_b64 v[20:21], 4, v[20:21]
	v_add_co_ci_u32_e32 v29, vcc_lo, v31, v29, vcc_lo
	v_add_co_u32 v20, vcc_lo, v30, v20
	v_add_co_ci_u32_e32 v21, vcc_lo, v31, v21, vcc_lo
	v_add_co_u32 v24, vcc_lo, v30, v24
	v_add_co_ci_u32_e32 v25, vcc_lo, v31, v25, vcc_lo
	s_waitcnt lgkmcnt(4)
	global_store_dwordx4 v[22:23], v[0:3], off
	s_waitcnt lgkmcnt(3)
	global_store_dwordx4 v[26:27], v[4:7], off
	;; [unrolled: 2-line block ×5, first 2 shown]
.LBB0_17:
	s_endpgm
	.section	.rodata,"a",@progbits
	.p2align	6, 0x0
	.amdhsa_kernel fft_rtc_back_len195_factors_13_5_3_wgs_52_tpt_13_dp_ip_CI_sbrr_dirReg
		.amdhsa_group_segment_fixed_size 0
		.amdhsa_private_segment_fixed_size 0
		.amdhsa_kernarg_size 88
		.amdhsa_user_sgpr_count 6
		.amdhsa_user_sgpr_private_segment_buffer 1
		.amdhsa_user_sgpr_dispatch_ptr 0
		.amdhsa_user_sgpr_queue_ptr 0
		.amdhsa_user_sgpr_kernarg_segment_ptr 1
		.amdhsa_user_sgpr_dispatch_id 0
		.amdhsa_user_sgpr_flat_scratch_init 0
		.amdhsa_user_sgpr_private_segment_size 0
		.amdhsa_wavefront_size32 1
		.amdhsa_uses_dynamic_stack 0
		.amdhsa_system_sgpr_private_segment_wavefront_offset 0
		.amdhsa_system_sgpr_workgroup_id_x 1
		.amdhsa_system_sgpr_workgroup_id_y 0
		.amdhsa_system_sgpr_workgroup_id_z 0
		.amdhsa_system_sgpr_workgroup_info 0
		.amdhsa_system_vgpr_workitem_id 0
		.amdhsa_next_free_vgpr 217
		.amdhsa_next_free_sgpr 46
		.amdhsa_reserve_vcc 1
		.amdhsa_reserve_flat_scratch 0
		.amdhsa_float_round_mode_32 0
		.amdhsa_float_round_mode_16_64 0
		.amdhsa_float_denorm_mode_32 3
		.amdhsa_float_denorm_mode_16_64 3
		.amdhsa_dx10_clamp 1
		.amdhsa_ieee_mode 1
		.amdhsa_fp16_overflow 0
		.amdhsa_workgroup_processor_mode 1
		.amdhsa_memory_ordered 1
		.amdhsa_forward_progress 0
		.amdhsa_shared_vgpr_count 0
		.amdhsa_exception_fp_ieee_invalid_op 0
		.amdhsa_exception_fp_denorm_src 0
		.amdhsa_exception_fp_ieee_div_zero 0
		.amdhsa_exception_fp_ieee_overflow 0
		.amdhsa_exception_fp_ieee_underflow 0
		.amdhsa_exception_fp_ieee_inexact 0
		.amdhsa_exception_int_div_zero 0
	.end_amdhsa_kernel
	.text
.Lfunc_end0:
	.size	fft_rtc_back_len195_factors_13_5_3_wgs_52_tpt_13_dp_ip_CI_sbrr_dirReg, .Lfunc_end0-fft_rtc_back_len195_factors_13_5_3_wgs_52_tpt_13_dp_ip_CI_sbrr_dirReg
                                        ; -- End function
	.section	.AMDGPU.csdata,"",@progbits
; Kernel info:
; codeLenInByte = 14360
; NumSgprs: 48
; NumVgprs: 217
; ScratchSize: 0
; MemoryBound: 0
; FloatMode: 240
; IeeeMode: 1
; LDSByteSize: 0 bytes/workgroup (compile time only)
; SGPRBlocks: 5
; VGPRBlocks: 27
; NumSGPRsForWavesPerEU: 48
; NumVGPRsForWavesPerEU: 217
; Occupancy: 4
; WaveLimiterHint : 1
; COMPUTE_PGM_RSRC2:SCRATCH_EN: 0
; COMPUTE_PGM_RSRC2:USER_SGPR: 6
; COMPUTE_PGM_RSRC2:TRAP_HANDLER: 0
; COMPUTE_PGM_RSRC2:TGID_X_EN: 1
; COMPUTE_PGM_RSRC2:TGID_Y_EN: 0
; COMPUTE_PGM_RSRC2:TGID_Z_EN: 0
; COMPUTE_PGM_RSRC2:TIDIG_COMP_CNT: 0
	.text
	.p2alignl 6, 3214868480
	.fill 48, 4, 3214868480
	.type	__hip_cuid_997f73f8c5c3345f,@object ; @__hip_cuid_997f73f8c5c3345f
	.section	.bss,"aw",@nobits
	.globl	__hip_cuid_997f73f8c5c3345f
__hip_cuid_997f73f8c5c3345f:
	.byte	0                               ; 0x0
	.size	__hip_cuid_997f73f8c5c3345f, 1

	.ident	"AMD clang version 19.0.0git (https://github.com/RadeonOpenCompute/llvm-project roc-6.4.0 25133 c7fe45cf4b819c5991fe208aaa96edf142730f1d)"
	.section	".note.GNU-stack","",@progbits
	.addrsig
	.addrsig_sym __hip_cuid_997f73f8c5c3345f
	.amdgpu_metadata
---
amdhsa.kernels:
  - .args:
      - .actual_access:  read_only
        .address_space:  global
        .offset:         0
        .size:           8
        .value_kind:     global_buffer
      - .offset:         8
        .size:           8
        .value_kind:     by_value
      - .actual_access:  read_only
        .address_space:  global
        .offset:         16
        .size:           8
        .value_kind:     global_buffer
      - .actual_access:  read_only
        .address_space:  global
        .offset:         24
        .size:           8
        .value_kind:     global_buffer
      - .offset:         32
        .size:           8
        .value_kind:     by_value
      - .actual_access:  read_only
        .address_space:  global
        .offset:         40
        .size:           8
        .value_kind:     global_buffer
      - .actual_access:  read_only
        .address_space:  global
        .offset:         48
        .size:           8
        .value_kind:     global_buffer
      - .offset:         56
        .size:           4
        .value_kind:     by_value
      - .actual_access:  read_only
        .address_space:  global
        .offset:         64
        .size:           8
        .value_kind:     global_buffer
      - .actual_access:  read_only
        .address_space:  global
        .offset:         72
        .size:           8
        .value_kind:     global_buffer
      - .address_space:  global
        .offset:         80
        .size:           8
        .value_kind:     global_buffer
    .group_segment_fixed_size: 0
    .kernarg_segment_align: 8
    .kernarg_segment_size: 88
    .language:       OpenCL C
    .language_version:
      - 2
      - 0
    .max_flat_workgroup_size: 52
    .name:           fft_rtc_back_len195_factors_13_5_3_wgs_52_tpt_13_dp_ip_CI_sbrr_dirReg
    .private_segment_fixed_size: 0
    .sgpr_count:     48
    .sgpr_spill_count: 0
    .symbol:         fft_rtc_back_len195_factors_13_5_3_wgs_52_tpt_13_dp_ip_CI_sbrr_dirReg.kd
    .uniform_work_group_size: 1
    .uses_dynamic_stack: false
    .vgpr_count:     217
    .vgpr_spill_count: 0
    .wavefront_size: 32
    .workgroup_processor_mode: 1
amdhsa.target:   amdgcn-amd-amdhsa--gfx1030
amdhsa.version:
  - 1
  - 2
...

	.end_amdgpu_metadata
